;; amdgpu-corpus repo=ROCm/rocFFT kind=compiled arch=gfx1100 opt=O3
	.text
	.amdgcn_target "amdgcn-amd-amdhsa--gfx1100"
	.amdhsa_code_object_version 6
	.protected	fft_rtc_back_len1190_factors_17_2_5_7_wgs_255_tpt_85_halfLds_dp_ip_CI_unitstride_sbrr_R2C_dirReg ; -- Begin function fft_rtc_back_len1190_factors_17_2_5_7_wgs_255_tpt_85_halfLds_dp_ip_CI_unitstride_sbrr_R2C_dirReg
	.globl	fft_rtc_back_len1190_factors_17_2_5_7_wgs_255_tpt_85_halfLds_dp_ip_CI_unitstride_sbrr_R2C_dirReg
	.p2align	8
	.type	fft_rtc_back_len1190_factors_17_2_5_7_wgs_255_tpt_85_halfLds_dp_ip_CI_unitstride_sbrr_R2C_dirReg,@function
fft_rtc_back_len1190_factors_17_2_5_7_wgs_255_tpt_85_halfLds_dp_ip_CI_unitstride_sbrr_R2C_dirReg: ; @fft_rtc_back_len1190_factors_17_2_5_7_wgs_255_tpt_85_halfLds_dp_ip_CI_unitstride_sbrr_R2C_dirReg
; %bb.0:
	s_load_b128 s[4:7], s[0:1], 0x0
	v_mul_u32_u24_e32 v1, 0x304, v0
	s_clause 0x1
	s_load_b64 s[8:9], s[0:1], 0x50
	s_load_b64 s[10:11], s[0:1], 0x18
	v_mov_b32_e32 v3, 0
	v_lshrrev_b32_e32 v4, 16, v1
	s_delay_alu instid0(VALU_DEP_1) | instskip(SKIP_3) | instid1(VALU_DEP_1)
	v_mad_u64_u32 v[1:2], null, s15, 3, v[4:5]
	v_mov_b32_e32 v5, 0
	v_mov_b32_e32 v6, 0
	;; [unrolled: 1-line block ×4, first 2 shown]
	s_waitcnt lgkmcnt(0)
	v_cmp_lt_u64_e64 s2, s[6:7], 2
	v_mov_b32_e32 v9, v1
	s_delay_alu instid0(VALU_DEP_2)
	s_and_b32 vcc_lo, exec_lo, s2
	s_cbranch_vccnz .LBB0_8
; %bb.1:
	s_load_b64 s[2:3], s[0:1], 0x10
	v_dual_mov_b32 v5, 0 :: v_dual_mov_b32 v8, v2
	s_add_u32 s12, s10, 8
	v_dual_mov_b32 v6, 0 :: v_dual_mov_b32 v7, v1
	s_addc_u32 s13, s11, 0
	s_mov_b64 s[16:17], 1
	s_waitcnt lgkmcnt(0)
	s_add_u32 s14, s2, 8
	s_addc_u32 s15, s3, 0
.LBB0_2:                                ; =>This Inner Loop Header: Depth=1
	s_load_b64 s[18:19], s[14:15], 0x0
                                        ; implicit-def: $vgpr9_vgpr10
	s_mov_b32 s2, exec_lo
	s_waitcnt lgkmcnt(0)
	v_or_b32_e32 v4, s19, v8
	s_delay_alu instid0(VALU_DEP_1)
	v_cmpx_ne_u64_e32 0, v[3:4]
	s_xor_b32 s3, exec_lo, s2
	s_cbranch_execz .LBB0_4
; %bb.3:                                ;   in Loop: Header=BB0_2 Depth=1
	v_cvt_f32_u32_e32 v2, s18
	v_cvt_f32_u32_e32 v4, s19
	s_sub_u32 s2, 0, s18
	s_subb_u32 s20, 0, s19
	s_delay_alu instid0(VALU_DEP_1) | instskip(NEXT) | instid1(VALU_DEP_1)
	v_fmac_f32_e32 v2, 0x4f800000, v4
	v_rcp_f32_e32 v2, v2
	s_waitcnt_depctr 0xfff
	v_mul_f32_e32 v2, 0x5f7ffffc, v2
	s_delay_alu instid0(VALU_DEP_1) | instskip(NEXT) | instid1(VALU_DEP_1)
	v_mul_f32_e32 v4, 0x2f800000, v2
	v_trunc_f32_e32 v4, v4
	s_delay_alu instid0(VALU_DEP_1) | instskip(SKIP_1) | instid1(VALU_DEP_2)
	v_fmac_f32_e32 v2, 0xcf800000, v4
	v_cvt_u32_f32_e32 v4, v4
	v_cvt_u32_f32_e32 v2, v2
	s_delay_alu instid0(VALU_DEP_2) | instskip(NEXT) | instid1(VALU_DEP_2)
	v_mul_lo_u32 v9, s2, v4
	v_mul_hi_u32 v10, s2, v2
	v_mul_lo_u32 v11, s20, v2
	s_delay_alu instid0(VALU_DEP_2) | instskip(SKIP_1) | instid1(VALU_DEP_2)
	v_add_nc_u32_e32 v9, v10, v9
	v_mul_lo_u32 v10, s2, v2
	v_add_nc_u32_e32 v9, v9, v11
	s_delay_alu instid0(VALU_DEP_2) | instskip(NEXT) | instid1(VALU_DEP_2)
	v_mul_hi_u32 v11, v2, v10
	v_mul_lo_u32 v12, v2, v9
	v_mul_hi_u32 v13, v2, v9
	v_mul_hi_u32 v14, v4, v10
	v_mul_lo_u32 v10, v4, v10
	v_mul_hi_u32 v15, v4, v9
	v_mul_lo_u32 v9, v4, v9
	v_add_co_u32 v11, vcc_lo, v11, v12
	v_add_co_ci_u32_e32 v12, vcc_lo, 0, v13, vcc_lo
	s_delay_alu instid0(VALU_DEP_2) | instskip(NEXT) | instid1(VALU_DEP_2)
	v_add_co_u32 v10, vcc_lo, v11, v10
	v_add_co_ci_u32_e32 v10, vcc_lo, v12, v14, vcc_lo
	v_add_co_ci_u32_e32 v11, vcc_lo, 0, v15, vcc_lo
	s_delay_alu instid0(VALU_DEP_2) | instskip(NEXT) | instid1(VALU_DEP_2)
	v_add_co_u32 v9, vcc_lo, v10, v9
	v_add_co_ci_u32_e32 v10, vcc_lo, 0, v11, vcc_lo
	s_delay_alu instid0(VALU_DEP_2) | instskip(NEXT) | instid1(VALU_DEP_2)
	v_add_co_u32 v2, vcc_lo, v2, v9
	v_add_co_ci_u32_e32 v4, vcc_lo, v4, v10, vcc_lo
	s_delay_alu instid0(VALU_DEP_2) | instskip(SKIP_1) | instid1(VALU_DEP_3)
	v_mul_hi_u32 v9, s2, v2
	v_mul_lo_u32 v11, s20, v2
	v_mul_lo_u32 v10, s2, v4
	s_delay_alu instid0(VALU_DEP_1) | instskip(SKIP_1) | instid1(VALU_DEP_2)
	v_add_nc_u32_e32 v9, v9, v10
	v_mul_lo_u32 v10, s2, v2
	v_add_nc_u32_e32 v9, v9, v11
	s_delay_alu instid0(VALU_DEP_2) | instskip(NEXT) | instid1(VALU_DEP_2)
	v_mul_hi_u32 v11, v2, v10
	v_mul_lo_u32 v12, v2, v9
	v_mul_hi_u32 v13, v2, v9
	v_mul_hi_u32 v14, v4, v10
	v_mul_lo_u32 v10, v4, v10
	v_mul_hi_u32 v15, v4, v9
	v_mul_lo_u32 v9, v4, v9
	v_add_co_u32 v11, vcc_lo, v11, v12
	v_add_co_ci_u32_e32 v12, vcc_lo, 0, v13, vcc_lo
	s_delay_alu instid0(VALU_DEP_2) | instskip(NEXT) | instid1(VALU_DEP_2)
	v_add_co_u32 v10, vcc_lo, v11, v10
	v_add_co_ci_u32_e32 v10, vcc_lo, v12, v14, vcc_lo
	v_add_co_ci_u32_e32 v11, vcc_lo, 0, v15, vcc_lo
	s_delay_alu instid0(VALU_DEP_2) | instskip(NEXT) | instid1(VALU_DEP_2)
	v_add_co_u32 v9, vcc_lo, v10, v9
	v_add_co_ci_u32_e32 v10, vcc_lo, 0, v11, vcc_lo
	s_delay_alu instid0(VALU_DEP_2) | instskip(NEXT) | instid1(VALU_DEP_2)
	v_add_co_u32 v2, vcc_lo, v2, v9
	v_add_co_ci_u32_e32 v4, vcc_lo, v4, v10, vcc_lo
	s_delay_alu instid0(VALU_DEP_2) | instskip(SKIP_1) | instid1(VALU_DEP_3)
	v_mul_hi_u32 v15, v7, v2
	v_mad_u64_u32 v[11:12], null, v8, v2, 0
	v_mad_u64_u32 v[9:10], null, v7, v4, 0
	;; [unrolled: 1-line block ×3, first 2 shown]
	s_delay_alu instid0(VALU_DEP_2) | instskip(NEXT) | instid1(VALU_DEP_3)
	v_add_co_u32 v2, vcc_lo, v15, v9
	v_add_co_ci_u32_e32 v4, vcc_lo, 0, v10, vcc_lo
	s_delay_alu instid0(VALU_DEP_2) | instskip(NEXT) | instid1(VALU_DEP_2)
	v_add_co_u32 v2, vcc_lo, v2, v11
	v_add_co_ci_u32_e32 v2, vcc_lo, v4, v12, vcc_lo
	v_add_co_ci_u32_e32 v4, vcc_lo, 0, v14, vcc_lo
	s_delay_alu instid0(VALU_DEP_2) | instskip(NEXT) | instid1(VALU_DEP_2)
	v_add_co_u32 v2, vcc_lo, v2, v13
	v_add_co_ci_u32_e32 v4, vcc_lo, 0, v4, vcc_lo
	s_delay_alu instid0(VALU_DEP_2) | instskip(SKIP_1) | instid1(VALU_DEP_3)
	v_mul_lo_u32 v11, s19, v2
	v_mad_u64_u32 v[9:10], null, s18, v2, 0
	v_mul_lo_u32 v12, s18, v4
	s_delay_alu instid0(VALU_DEP_2) | instskip(NEXT) | instid1(VALU_DEP_2)
	v_sub_co_u32 v9, vcc_lo, v7, v9
	v_add3_u32 v10, v10, v12, v11
	s_delay_alu instid0(VALU_DEP_1) | instskip(NEXT) | instid1(VALU_DEP_1)
	v_sub_nc_u32_e32 v11, v8, v10
	v_subrev_co_ci_u32_e64 v11, s2, s19, v11, vcc_lo
	v_add_co_u32 v12, s2, v2, 2
	s_delay_alu instid0(VALU_DEP_1) | instskip(SKIP_3) | instid1(VALU_DEP_3)
	v_add_co_ci_u32_e64 v13, s2, 0, v4, s2
	v_sub_co_u32 v14, s2, v9, s18
	v_sub_co_ci_u32_e32 v10, vcc_lo, v8, v10, vcc_lo
	v_subrev_co_ci_u32_e64 v11, s2, 0, v11, s2
	v_cmp_le_u32_e32 vcc_lo, s18, v14
	s_delay_alu instid0(VALU_DEP_3) | instskip(SKIP_1) | instid1(VALU_DEP_4)
	v_cmp_eq_u32_e64 s2, s19, v10
	v_cndmask_b32_e64 v14, 0, -1, vcc_lo
	v_cmp_le_u32_e32 vcc_lo, s19, v11
	v_cndmask_b32_e64 v15, 0, -1, vcc_lo
	v_cmp_le_u32_e32 vcc_lo, s18, v9
	;; [unrolled: 2-line block ×3, first 2 shown]
	v_cndmask_b32_e64 v16, 0, -1, vcc_lo
	v_cmp_eq_u32_e32 vcc_lo, s19, v11
	s_delay_alu instid0(VALU_DEP_2) | instskip(SKIP_3) | instid1(VALU_DEP_3)
	v_cndmask_b32_e64 v9, v16, v9, s2
	v_cndmask_b32_e32 v11, v15, v14, vcc_lo
	v_add_co_u32 v14, vcc_lo, v2, 1
	v_add_co_ci_u32_e32 v15, vcc_lo, 0, v4, vcc_lo
	v_cmp_ne_u32_e32 vcc_lo, 0, v11
	s_delay_alu instid0(VALU_DEP_2) | instskip(SKIP_1) | instid1(VALU_DEP_2)
	v_dual_cndmask_b32 v10, v15, v13 :: v_dual_cndmask_b32 v11, v14, v12
	v_cmp_ne_u32_e32 vcc_lo, 0, v9
	v_dual_cndmask_b32 v10, v4, v10 :: v_dual_cndmask_b32 v9, v2, v11
.LBB0_4:                                ;   in Loop: Header=BB0_2 Depth=1
	s_and_not1_saveexec_b32 s2, s3
	s_cbranch_execz .LBB0_6
; %bb.5:                                ;   in Loop: Header=BB0_2 Depth=1
	v_cvt_f32_u32_e32 v2, s18
	s_sub_i32 s3, 0, s18
	s_delay_alu instid0(VALU_DEP_1) | instskip(SKIP_2) | instid1(VALU_DEP_1)
	v_rcp_iflag_f32_e32 v2, v2
	s_waitcnt_depctr 0xfff
	v_mul_f32_e32 v2, 0x4f7ffffe, v2
	v_cvt_u32_f32_e32 v2, v2
	s_delay_alu instid0(VALU_DEP_1) | instskip(NEXT) | instid1(VALU_DEP_1)
	v_mul_lo_u32 v4, s3, v2
	v_mul_hi_u32 v4, v2, v4
	s_delay_alu instid0(VALU_DEP_1) | instskip(NEXT) | instid1(VALU_DEP_1)
	v_add_nc_u32_e32 v2, v2, v4
	v_mul_hi_u32 v2, v7, v2
	s_delay_alu instid0(VALU_DEP_1) | instskip(SKIP_1) | instid1(VALU_DEP_2)
	v_mul_lo_u32 v4, v2, s18
	v_add_nc_u32_e32 v9, 1, v2
	v_sub_nc_u32_e32 v4, v7, v4
	s_delay_alu instid0(VALU_DEP_1) | instskip(SKIP_1) | instid1(VALU_DEP_2)
	v_subrev_nc_u32_e32 v10, s18, v4
	v_cmp_le_u32_e32 vcc_lo, s18, v4
	v_cndmask_b32_e32 v4, v4, v10, vcc_lo
	v_mov_b32_e32 v10, v3
	v_cndmask_b32_e32 v2, v2, v9, vcc_lo
	s_delay_alu instid0(VALU_DEP_3) | instskip(NEXT) | instid1(VALU_DEP_2)
	v_cmp_le_u32_e32 vcc_lo, s18, v4
	v_add_nc_u32_e32 v9, 1, v2
	s_delay_alu instid0(VALU_DEP_1)
	v_cndmask_b32_e32 v9, v2, v9, vcc_lo
.LBB0_6:                                ;   in Loop: Header=BB0_2 Depth=1
	s_or_b32 exec_lo, exec_lo, s2
	s_load_b64 s[2:3], s[12:13], 0x0
	v_mul_lo_u32 v2, v10, s18
	s_delay_alu instid0(VALU_DEP_2)
	v_mul_lo_u32 v4, v9, s19
	v_mad_u64_u32 v[11:12], null, v9, s18, 0
	s_add_u32 s16, s16, 1
	s_addc_u32 s17, s17, 0
	s_add_u32 s12, s12, 8
	s_addc_u32 s13, s13, 0
	;; [unrolled: 2-line block ×3, first 2 shown]
	s_delay_alu instid0(VALU_DEP_1) | instskip(SKIP_1) | instid1(VALU_DEP_2)
	v_add3_u32 v2, v12, v4, v2
	v_sub_co_u32 v4, vcc_lo, v7, v11
	v_sub_co_ci_u32_e32 v2, vcc_lo, v8, v2, vcc_lo
	s_waitcnt lgkmcnt(0)
	s_delay_alu instid0(VALU_DEP_2) | instskip(NEXT) | instid1(VALU_DEP_2)
	v_mul_lo_u32 v11, s3, v4
	v_mul_lo_u32 v2, s2, v2
	v_mad_u64_u32 v[7:8], null, s2, v4, v[5:6]
	v_cmp_ge_u64_e64 s2, s[16:17], s[6:7]
	s_delay_alu instid0(VALU_DEP_1) | instskip(NEXT) | instid1(VALU_DEP_2)
	s_and_b32 vcc_lo, exec_lo, s2
	v_add3_u32 v6, v11, v8, v2
	s_delay_alu instid0(VALU_DEP_3)
	v_mov_b32_e32 v5, v7
	s_cbranch_vccnz .LBB0_8
; %bb.7:                                ;   in Loop: Header=BB0_2 Depth=1
	v_dual_mov_b32 v7, v9 :: v_dual_mov_b32 v8, v10
	s_branch .LBB0_2
.LBB0_8:
	s_lshl_b64 s[2:3], s[6:7], 3
	v_mul_hi_u32 v2, 0xaaaaaaab, v1
	s_add_u32 s2, s10, s2
	s_addc_u32 s3, s11, s3
	s_load_b64 s[0:1], s[0:1], 0x20
	s_load_b64 s[2:3], s[2:3], 0x0
	v_mul_hi_u32 v4, 0x3030304, v0
	s_delay_alu instid0(VALU_DEP_2) | instskip(NEXT) | instid1(VALU_DEP_2)
	v_lshrrev_b32_e32 v2, 1, v2
	v_mul_u32_u24_e32 v4, 0x55, v4
	s_delay_alu instid0(VALU_DEP_2) | instskip(NEXT) | instid1(VALU_DEP_2)
	v_lshl_add_u32 v7, v2, 1, v2
	v_sub_nc_u32_e32 v72, v0, v4
	s_delay_alu instid0(VALU_DEP_2)
	v_sub_nc_u32_e32 v1, v1, v7
	s_waitcnt lgkmcnt(0)
	v_cmp_gt_u64_e32 vcc_lo, s[0:1], v[9:10]
	v_mul_lo_u32 v8, s2, v10
	v_mul_lo_u32 v11, s3, v9
	v_mad_u64_u32 v[2:3], null, s2, v9, v[5:6]
	v_mul_u32_u24_e32 v174, 0x4a7, v1
	v_lshlrev_b32_e32 v173, 4, v72
	s_delay_alu instid0(VALU_DEP_2) | instskip(NEXT) | instid1(VALU_DEP_4)
	v_lshlrev_b32_e32 v177, 4, v174
	v_add3_u32 v3, v11, v3, v8
	s_delay_alu instid0(VALU_DEP_1)
	v_lshlrev_b64 v[74:75], 4, v[2:3]
	s_and_saveexec_b32 s1, vcc_lo
	s_cbranch_execz .LBB0_10
; %bb.9:
	v_mov_b32_e32 v73, 0
	s_delay_alu instid0(VALU_DEP_2) | instskip(NEXT) | instid1(VALU_DEP_1)
	v_add_co_u32 v2, s0, s8, v74
	v_add_co_ci_u32_e64 v3, s0, s9, v75, s0
	s_delay_alu instid0(VALU_DEP_3) | instskip(SKIP_1) | instid1(VALU_DEP_2)
	v_lshlrev_b64 v[0:1], 4, v[72:73]
	v_add3_u32 v56, 0, v177, v173
	v_add_co_u32 v32, s0, v2, v0
	s_delay_alu instid0(VALU_DEP_1) | instskip(SKIP_4) | instid1(VALU_DEP_1)
	v_add_co_ci_u32_e64 v33, s0, v3, v1, s0
	s_clause 0x1
	global_load_b128 v[0:3], v[32:33], off
	global_load_b128 v[4:7], v[32:33], off offset:1360
	v_add_co_u32 v24, s0, 0x1000, v32
	v_add_co_ci_u32_e64 v25, s0, 0, v33, s0
	v_add_co_u32 v36, s0, 0x2000, v32
	s_delay_alu instid0(VALU_DEP_1) | instskip(SKIP_1) | instid1(VALU_DEP_1)
	v_add_co_ci_u32_e64 v37, s0, 0, v33, s0
	v_add_co_u32 v48, s0, 0x3000, v32
	v_add_co_ci_u32_e64 v49, s0, 0, v33, s0
	v_add_co_u32 v52, s0, 0x4000, v32
	s_delay_alu instid0(VALU_DEP_1)
	v_add_co_ci_u32_e64 v53, s0, 0, v33, s0
	s_clause 0xb
	global_load_b128 v[8:11], v[32:33], off offset:2720
	global_load_b128 v[12:15], v[32:33], off offset:4080
	;; [unrolled: 1-line block ×12, first 2 shown]
	s_waitcnt vmcnt(13)
	ds_store_b128 v56, v[0:3]
	s_waitcnt vmcnt(12)
	ds_store_b128 v56, v[4:7] offset:1360
	s_waitcnt vmcnt(11)
	ds_store_b128 v56, v[8:11] offset:2720
	;; [unrolled: 2-line block ×13, first 2 shown]
.LBB0_10:
	s_or_b32 exec_lo, exec_lo, s1
	v_add_nc_u32_e32 v175, 0, v173
	s_waitcnt lgkmcnt(0)
	s_barrier
	buffer_gl0_inv
	v_add_nc_u32_e32 v176, 0, v177
	v_add_nc_u32_e32 v73, v175, v177
	s_mov_b32 s16, 0x7c9e640b
	s_mov_b32 s6, 0x2b2883cd
	;; [unrolled: 1-line block ×3, first 2 shown]
	v_add_nc_u32_e32 v172, v176, v173
	ds_load_b128 v[8:11], v73 offset:17920
	ds_load_b128 v[32:35], v73 offset:1120
	s_mov_b32 s7, 0x3fdc86fa
	s_mov_b32 s14, 0x6c9a05f6
	;; [unrolled: 1-line block ×3, first 2 shown]
	ds_load_b128 v[4:7], v172
	ds_load_b128 v[12:15], v73 offset:16800
	ds_load_b128 v[40:43], v73 offset:2240
	;; [unrolled: 1-line block ×4, first 2 shown]
	s_mov_b32 s15, 0xbfe9895b
	s_mov_b32 s3, 0xbfe348c8
	ds_load_b128 v[20:23], v73 offset:14560
	ds_load_b128 v[48:51], v73 offset:4480
	s_mov_b32 s10, 0x7faef3
	s_mov_b32 s21, 0x3fc7851a
	;; [unrolled: 1-line block ×4, first 2 shown]
	ds_load_b128 v[52:55], v73 offset:5600
	ds_load_b128 v[24:27], v73 offset:13440
	s_mov_b32 s12, 0xc61f0d01
	s_mov_b32 s28, 0x923c349f
	;; [unrolled: 1-line block ×5, first 2 shown]
	s_waitcnt lgkmcnt(9)
	v_add_f64 v[150:151], v[34:35], -v[10:11]
	v_add_f64 v[152:153], v[34:35], v[10:11]
	v_add_f64 v[146:147], v[32:33], v[8:9]
	v_add_f64 v[158:159], v[32:33], -v[8:9]
	s_mov_b32 s30, 0x2a9d6da3
	s_waitcnt lgkmcnt(6)
	v_add_f64 v[90:91], v[42:43], -v[14:15]
	v_add_f64 v[76:77], v[42:43], v[14:15]
	v_add_f64 v[78:79], v[40:41], v[12:13]
	s_waitcnt lgkmcnt(4)
	v_add_f64 v[92:93], v[46:47], -v[18:19]
	v_add_f64 v[94:95], v[40:41], -v[12:13]
	v_add_f64 v[80:81], v[46:47], v[18:19]
	v_add_f64 v[82:83], v[44:45], v[16:17]
	v_add_f64 v[112:113], v[44:45], -v[16:17]
	s_waitcnt lgkmcnt(2)
	v_add_f64 v[106:107], v[50:51], -v[22:23]
	v_add_f64 v[84:85], v[50:51], v[22:23]
	v_add_f64 v[86:87], v[48:49], v[20:21]
	v_add_f64 v[116:117], v[48:49], -v[20:21]
	s_waitcnt lgkmcnt(0)
	v_add_f64 v[108:109], v[54:55], -v[26:27]
	v_add_f64 v[88:89], v[54:55], v[26:27]
	s_mov_b32 s19, 0x3fe7a5f6
	s_mov_b32 s31, 0x3fe58eea
	v_add_f64 v[96:97], v[52:53], v[24:25]
	v_add_f64 v[122:123], v[52:53], -v[24:25]
	s_mov_b32 s22, 0x370991
	s_mov_b32 s34, 0x5d8e7cdc
	;; [unrolled: 1-line block ×12, first 2 shown]
	s_mov_b32 s33, exec_lo
	v_mul_f64 v[166:167], v[150:151], s[16:17]
	v_mul_f64 v[170:171], v[152:153], s[6:7]
	;; [unrolled: 1-line block ×10, first 2 shown]
	v_fma_f64 v[0:1], v[146:147], s[6:7], -v[166:167]
	v_fma_f64 v[2:3], v[158:159], s[16:17], v[170:171]
	v_fma_f64 v[28:29], v[78:79], s[2:3], -v[132:133]
	v_fma_f64 v[30:31], v[94:95], s[14:15], v[134:135]
	v_fma_f64 v[56:57], v[82:83], s[10:11], -v[136:137]
	v_fma_f64 v[58:59], v[112:113], s[20:21], v[138:139]
	v_fma_f64 v[68:69], v[86:87], s[12:13], -v[140:141]
	v_fma_f64 v[70:71], v[116:117], s[28:29], v[142:143]
	v_fma_f64 v[114:115], v[96:97], s[18:19], -v[144:145]
	v_fma_f64 v[130:131], v[122:123], s[30:31], v[148:149]
	v_add_f64 v[0:1], v[4:5], v[0:1]
	v_add_f64 v[2:3], v[6:7], v[2:3]
	s_delay_alu instid0(VALU_DEP_2) | instskip(NEXT) | instid1(VALU_DEP_2)
	v_add_f64 v[0:1], v[28:29], v[0:1]
	v_add_f64 v[2:3], v[30:31], v[2:3]
	ds_load_b128 v[28:31], v73 offset:12320
	ds_load_b128 v[60:63], v73 offset:6720
	ds_load_b128 v[64:67], v73 offset:7840
	ds_load_b128 v[36:39], v73 offset:11200
	s_waitcnt lgkmcnt(2)
	v_add_f64 v[118:119], v[62:63], -v[30:31]
	v_add_f64 v[98:99], v[62:63], v[30:31]
	v_add_f64 v[100:101], v[60:61], v[28:29]
	v_add_f64 v[124:125], v[60:61], -v[28:29]
	s_waitcnt lgkmcnt(0)
	v_add_f64 v[120:121], v[66:67], -v[38:39]
	v_add_f64 v[102:103], v[66:67], v[38:39]
	v_add_f64 v[104:105], v[64:65], v[36:37]
	v_add_f64 v[128:129], v[64:65], -v[36:37]
	v_add_f64 v[0:1], v[56:57], v[0:1]
	v_add_f64 v[2:3], v[58:59], v[2:3]
	v_mul_f64 v[154:155], v[118:119], s[34:35]
	v_mul_f64 v[156:157], v[98:99], s[22:23]
	;; [unrolled: 1-line block ×4, first 2 shown]
	v_add_f64 v[0:1], v[68:69], v[0:1]
	v_add_f64 v[2:3], v[70:71], v[2:3]
	ds_load_b128 v[68:71], v73 offset:8960
	ds_load_b128 v[56:59], v73 offset:10080
	s_waitcnt lgkmcnt(0)
	s_barrier
	buffer_gl0_inv
	v_add_f64 v[126:127], v[70:71], -v[58:59]
	v_add_f64 v[110:111], v[70:71], v[58:59]
	v_fma_f64 v[178:179], v[100:101], s[22:23], -v[154:155]
	v_fma_f64 v[180:181], v[124:125], s[34:35], v[156:157]
	v_fma_f64 v[182:183], v[104:105], s[24:25], -v[160:161]
	v_fma_f64 v[184:185], v[128:129], s[36:37], v[164:165]
	v_add_f64 v[0:1], v[114:115], v[0:1]
	v_add_f64 v[2:3], v[130:131], v[2:3]
	;; [unrolled: 1-line block ×3, first 2 shown]
	v_add_f64 v[130:131], v[68:69], -v[56:57]
	v_mul_f64 v[162:163], v[126:127], s[38:39]
	v_mul_f64 v[168:169], v[110:111], s[26:27]
	v_add_f64 v[0:1], v[178:179], v[0:1]
	v_add_f64 v[2:3], v[180:181], v[2:3]
	s_delay_alu instid0(VALU_DEP_4) | instskip(NEXT) | instid1(VALU_DEP_4)
	v_fma_f64 v[178:179], v[114:115], s[26:27], -v[162:163]
	v_fma_f64 v[180:181], v[130:131], s[38:39], v[168:169]
	s_delay_alu instid0(VALU_DEP_4) | instskip(NEXT) | instid1(VALU_DEP_4)
	v_add_f64 v[0:1], v[182:183], v[0:1]
	v_add_f64 v[2:3], v[184:185], v[2:3]
	s_delay_alu instid0(VALU_DEP_2) | instskip(NEXT) | instid1(VALU_DEP_2)
	v_add_f64 v[0:1], v[178:179], v[0:1]
	v_add_f64 v[2:3], v[180:181], v[2:3]
	v_cmpx_gt_u32_e32 0x46, v72
	s_cbranch_execz .LBB0_12
; %bb.11:
	v_add_f64 v[32:33], v[4:5], v[32:33]
	v_add_f64 v[34:35], v[6:7], v[34:35]
	s_mov_b32 s1, 0xbfeec746
	s_mov_b32 s0, s28
	;; [unrolled: 1-line block ×8, first 2 shown]
	v_mul_f64 v[190:191], v[130:131], s[0:1]
	v_mul_f64 v[192:193], v[126:127], s[0:1]
	;; [unrolled: 1-line block ×8, first 2 shown]
	s_mov_b32 s45, 0x3fd71e95
	s_mov_b32 s44, s34
	v_mul_f64 v[216:217], v[130:131], s[40:41]
	v_mul_f64 v[218:219], v[126:127], s[40:41]
	;; [unrolled: 1-line block ×5, first 2 shown]
	v_add_f64 v[32:33], v[32:33], v[40:41]
	v_add_f64 v[34:35], v[34:35], v[42:43]
	s_delay_alu instid0(VALU_DEP_2) | instskip(NEXT) | instid1(VALU_DEP_2)
	v_add_f64 v[32:33], v[32:33], v[44:45]
	v_add_f64 v[34:35], v[34:35], v[46:47]
	v_mul_f64 v[46:47], v[150:151], s[38:39]
	s_delay_alu instid0(VALU_DEP_3) | instskip(NEXT) | instid1(VALU_DEP_3)
	v_add_f64 v[32:33], v[32:33], v[48:49]
	v_add_f64 v[34:35], v[34:35], v[50:51]
	v_mul_f64 v[48:49], v[150:151], s[14:15]
	v_mul_f64 v[50:51], v[150:151], s[36:37]
	s_delay_alu instid0(VALU_DEP_4) | instskip(NEXT) | instid1(VALU_DEP_4)
	v_add_f64 v[32:33], v[32:33], v[52:53]
	v_add_f64 v[34:35], v[34:35], v[54:55]
	v_mul_f64 v[52:53], v[150:151], s[34:35]
	s_delay_alu instid0(VALU_DEP_3) | instskip(NEXT) | instid1(VALU_DEP_3)
	v_add_f64 v[32:33], v[32:33], v[60:61]
	v_add_f64 v[34:35], v[34:35], v[62:63]
	v_fma_f64 v[60:61], v[146:147], s[26:27], -v[46:47]
	v_fma_f64 v[46:47], v[146:147], s[26:27], v[46:47]
	v_fma_f64 v[62:63], v[146:147], s[2:3], -v[48:49]
	v_fma_f64 v[48:49], v[146:147], s[2:3], v[48:49]
	v_add_f64 v[32:33], v[32:33], v[64:65]
	v_add_f64 v[34:35], v[34:35], v[66:67]
	v_fma_f64 v[64:65], v[146:147], s[24:25], -v[50:51]
	v_fma_f64 v[50:51], v[146:147], s[24:25], v[50:51]
	v_fma_f64 v[66:67], v[146:147], s[22:23], -v[52:53]
	v_fma_f64 v[52:53], v[146:147], s[22:23], v[52:53]
	v_add_f64 v[60:61], v[4:5], v[60:61]
	v_add_f64 v[46:47], v[4:5], v[46:47]
	;; [unrolled: 1-line block ×8, first 2 shown]
	s_delay_alu instid0(VALU_DEP_4) | instskip(NEXT) | instid1(VALU_DEP_4)
	v_add_f64 v[32:33], v[32:33], v[56:57]
	v_add_f64 v[34:35], v[34:35], v[58:59]
	v_mul_f64 v[56:57], v[150:151], s[0:1]
	v_mul_f64 v[58:59], v[150:151], s[42:43]
	s_delay_alu instid0(VALU_DEP_4) | instskip(NEXT) | instid1(VALU_DEP_4)
	v_add_f64 v[32:33], v[32:33], v[36:37]
	v_add_f64 v[34:35], v[34:35], v[38:39]
	s_delay_alu instid0(VALU_DEP_4) | instskip(SKIP_1) | instid1(VALU_DEP_4)
	v_fma_f64 v[70:71], v[146:147], s[12:13], -v[56:57]
	v_fma_f64 v[56:57], v[146:147], s[12:13], v[56:57]
	v_add_f64 v[28:29], v[32:33], v[28:29]
	s_delay_alu instid0(VALU_DEP_4) | instskip(NEXT) | instid1(VALU_DEP_4)
	v_add_f64 v[30:31], v[34:35], v[30:31]
	v_add_f64 v[70:71], v[4:5], v[70:71]
	s_delay_alu instid0(VALU_DEP_4) | instskip(NEXT) | instid1(VALU_DEP_4)
	v_add_f64 v[56:57], v[4:5], v[56:57]
	v_add_f64 v[24:25], v[28:29], v[24:25]
	s_delay_alu instid0(VALU_DEP_4) | instskip(SKIP_2) | instid1(VALU_DEP_4)
	v_add_f64 v[26:27], v[30:31], v[26:27]
	v_mul_f64 v[28:29], v[158:159], s[0:1]
	v_mul_f64 v[30:31], v[158:159], s[42:43]
	v_add_f64 v[20:21], v[24:25], v[20:21]
	s_delay_alu instid0(VALU_DEP_4)
	v_add_f64 v[22:23], v[26:27], v[22:23]
	v_mul_f64 v[24:25], v[112:113], s[20:21]
	s_mov_b32 s21, 0xbfc7851a
	v_fma_f64 v[42:43], v[152:153], s[12:13], v[28:29]
	v_mul_f64 v[26:27], v[158:159], s[20:21]
	v_mul_f64 v[54:55], v[150:151], s[20:21]
	v_fma_f64 v[150:151], v[146:147], s[18:19], -v[58:59]
	v_fma_f64 v[58:59], v[146:147], s[18:19], v[58:59]
	v_fma_f64 v[28:29], v[152:153], s[12:13], -v[28:29]
	v_fma_f64 v[44:45], v[152:153], s[18:19], v[30:31]
	v_fma_f64 v[30:31], v[152:153], s[18:19], -v[30:31]
	v_mul_f64 v[206:207], v[130:131], s[20:21]
	v_mul_f64 v[208:209], v[126:127], s[20:21]
	v_add_f64 v[16:17], v[20:21], v[16:17]
	v_add_f64 v[18:19], v[22:23], v[18:19]
	v_mul_f64 v[20:21], v[158:159], s[36:37]
	v_mul_f64 v[22:23], v[158:159], s[34:35]
	v_add_f64 v[24:25], v[138:139], -v[24:25]
	v_fma_f64 v[40:41], v[152:153], s[10:11], v[26:27]
	v_fma_f64 v[26:27], v[152:153], s[10:11], -v[26:27]
	v_fma_f64 v[68:69], v[146:147], s[10:11], -v[54:55]
	v_fma_f64 v[54:55], v[146:147], s[10:11], v[54:55]
	v_add_f64 v[150:151], v[4:5], v[150:151]
	v_add_f64 v[58:59], v[4:5], v[58:59]
	;; [unrolled: 1-line block ×5, first 2 shown]
	v_mul_f64 v[138:139], v[116:117], s[44:45]
	v_add_f64 v[12:13], v[16:17], v[12:13]
	v_add_f64 v[14:15], v[18:19], v[14:15]
	v_mul_f64 v[16:17], v[158:159], s[38:39]
	v_fma_f64 v[36:37], v[152:153], s[24:25], v[20:21]
	v_fma_f64 v[20:21], v[152:153], s[24:25], -v[20:21]
	v_fma_f64 v[38:39], v[152:153], s[22:23], v[22:23]
	v_fma_f64 v[22:23], v[152:153], s[22:23], -v[22:23]
	v_mul_f64 v[18:19], v[158:159], s[14:15]
	v_add_f64 v[54:55], v[4:5], v[54:55]
	v_add_f64 v[40:41], v[6:7], v[40:41]
	;; [unrolled: 1-line block ×3, first 2 shown]
	v_mul_f64 v[12:13], v[158:159], s[16:17]
	v_add_f64 v[10:11], v[14:15], v[10:11]
	v_mul_f64 v[14:15], v[146:147], s[6:7]
	v_fma_f64 v[32:33], v[152:153], s[26:27], v[16:17]
	v_fma_f64 v[16:17], v[152:153], s[26:27], -v[16:17]
	v_add_f64 v[158:159], v[6:7], v[36:37]
	v_add_f64 v[36:37], v[6:7], v[20:21]
	;; [unrolled: 1-line block ×5, first 2 shown]
	v_fma_f64 v[34:35], v[152:153], s[2:3], v[18:19]
	v_fma_f64 v[18:19], v[152:153], s[2:3], -v[18:19]
	v_add_f64 v[68:69], v[6:7], v[42:43]
	v_add_f64 v[12:13], v[170:171], -v[12:13]
	v_add_f64 v[14:15], v[14:15], v[166:167]
	v_add_f64 v[32:33], v[6:7], v[32:33]
	;; [unrolled: 1-line block ×5, first 2 shown]
	v_mul_f64 v[26:27], v[112:113], s[36:37]
	v_add_f64 v[152:153], v[6:7], v[34:35]
	v_add_f64 v[34:35], v[6:7], v[18:19]
	;; [unrolled: 1-line block ×4, first 2 shown]
	v_mul_f64 v[12:13], v[94:95], s[40:41]
	v_add_f64 v[170:171], v[4:5], v[14:15]
	v_mul_f64 v[14:15], v[90:91], s[40:41]
	v_fma_f64 v[28:29], v[80:81], s[24:25], v[26:27]
	v_fma_f64 v[26:27], v[80:81], s[24:25], -v[26:27]
	v_fma_f64 v[4:5], v[76:77], s[6:7], v[12:13]
	v_fma_f64 v[12:13], v[76:77], s[6:7], -v[12:13]
	v_fma_f64 v[6:7], v[78:79], s[6:7], -v[14:15]
	v_fma_f64 v[14:15], v[78:79], s[6:7], v[14:15]
	s_delay_alu instid0(VALU_DEP_4) | instskip(NEXT) | instid1(VALU_DEP_4)
	v_add_f64 v[4:5], v[4:5], v[32:33]
	v_add_f64 v[12:13], v[12:13], v[146:147]
	s_delay_alu instid0(VALU_DEP_4) | instskip(NEXT) | instid1(VALU_DEP_4)
	v_add_f64 v[6:7], v[6:7], v[60:61]
	v_add_f64 v[14:15], v[14:15], v[46:47]
	v_mul_f64 v[146:147], v[94:95], s[42:43]
	v_mul_f64 v[46:47], v[124:125], s[34:35]
	v_add_f64 v[4:5], v[28:29], v[4:5]
	v_mul_f64 v[28:29], v[92:93], s[36:37]
	v_add_f64 v[12:13], v[26:27], v[12:13]
	s_delay_alu instid0(VALU_DEP_4) | instskip(SKIP_1) | instid1(VALU_DEP_4)
	v_add_f64 v[46:47], v[156:157], -v[46:47]
	v_mul_f64 v[156:157], v[128:129], s[46:47]
	v_fma_f64 v[30:31], v[82:83], s[24:25], -v[28:29]
	v_fma_f64 v[26:27], v[82:83], s[24:25], v[28:29]
	v_fma_f64 v[28:29], v[114:115], s[12:13], v[192:193]
	s_delay_alu instid0(VALU_DEP_3) | instskip(SKIP_1) | instid1(VALU_DEP_4)
	v_add_f64 v[6:7], v[30:31], v[6:7]
	v_mul_f64 v[30:31], v[116:117], s[46:47]
	v_add_f64 v[14:15], v[26:27], v[14:15]
	s_delay_alu instid0(VALU_DEP_2) | instskip(SKIP_2) | instid1(VALU_DEP_3)
	v_fma_f64 v[32:33], v[84:85], s[2:3], v[30:31]
	v_fma_f64 v[26:27], v[84:85], s[2:3], -v[30:31]
	v_mul_f64 v[30:31], v[86:87], s[12:13]
	v_add_f64 v[4:5], v[32:33], v[4:5]
	v_mul_f64 v[32:33], v[106:107], s[46:47]
	s_delay_alu instid0(VALU_DEP_4) | instskip(NEXT) | instid1(VALU_DEP_4)
	v_add_f64 v[12:13], v[26:27], v[12:13]
	v_add_f64 v[30:31], v[30:31], v[140:141]
	v_mul_f64 v[140:141], v[106:107], s[44:45]
	s_delay_alu instid0(VALU_DEP_4) | instskip(SKIP_2) | instid1(VALU_DEP_3)
	v_fma_f64 v[38:39], v[86:87], s[2:3], -v[32:33]
	v_fma_f64 v[26:27], v[86:87], s[2:3], v[32:33]
	v_mul_f64 v[32:33], v[82:83], s[10:11]
	v_add_f64 v[6:7], v[38:39], v[6:7]
	v_mul_f64 v[38:39], v[122:123], s[34:35]
	s_delay_alu instid0(VALU_DEP_4) | instskip(NEXT) | instid1(VALU_DEP_4)
	v_add_f64 v[14:15], v[26:27], v[14:15]
	v_add_f64 v[32:33], v[32:33], v[136:137]
	v_mul_f64 v[136:137], v[92:93], s[28:29]
	s_delay_alu instid0(VALU_DEP_4) | instskip(SKIP_2) | instid1(VALU_DEP_3)
	v_fma_f64 v[42:43], v[88:89], s[22:23], v[38:39]
	v_fma_f64 v[26:27], v[88:89], s[22:23], -v[38:39]
	v_mul_f64 v[38:39], v[78:79], s[2:3]
	v_add_f64 v[4:5], v[42:43], v[4:5]
	v_mul_f64 v[42:43], v[108:109], s[34:35]
	s_delay_alu instid0(VALU_DEP_4) | instskip(NEXT) | instid1(VALU_DEP_4)
	v_add_f64 v[12:13], v[26:27], v[12:13]
	v_add_f64 v[38:39], v[38:39], v[132:133]
	v_mul_f64 v[132:133], v[90:91], s[20:21]
	s_delay_alu instid0(VALU_DEP_4) | instskip(SKIP_1) | instid1(VALU_DEP_4)
	v_fma_f64 v[44:45], v[96:97], s[22:23], -v[42:43]
	v_fma_f64 v[26:27], v[96:97], s[22:23], v[42:43]
	v_add_f64 v[38:39], v[38:39], v[170:171]
	v_mul_f64 v[42:43], v[122:123], s[30:31]
	s_delay_alu instid0(VALU_DEP_4) | instskip(SKIP_2) | instid1(VALU_DEP_4)
	v_add_f64 v[6:7], v[44:45], v[6:7]
	v_mul_f64 v[44:45], v[124:125], s[20:21]
	v_add_f64 v[14:15], v[26:27], v[14:15]
	v_add_f64 v[42:43], v[148:149], -v[42:43]
	v_mul_f64 v[148:149], v[124:125], s[38:39]
	s_delay_alu instid0(VALU_DEP_4) | instskip(SKIP_2) | instid1(VALU_DEP_3)
	v_fma_f64 v[60:61], v[98:99], s[10:11], v[44:45]
	v_fma_f64 v[26:27], v[98:99], s[10:11], -v[44:45]
	v_mul_f64 v[44:45], v[96:97], s[18:19]
	v_add_f64 v[4:5], v[60:61], v[4:5]
	v_mul_f64 v[60:61], v[118:119], s[20:21]
	s_delay_alu instid0(VALU_DEP_4) | instskip(NEXT) | instid1(VALU_DEP_4)
	v_add_f64 v[12:13], v[26:27], v[12:13]
	v_add_f64 v[44:45], v[44:45], v[144:145]
	v_mul_f64 v[144:145], v[108:109], s[16:17]
	s_delay_alu instid0(VALU_DEP_4) | instskip(SKIP_2) | instid1(VALU_DEP_3)
	v_fma_f64 v[184:185], v[100:101], s[10:11], -v[60:61]
	v_fma_f64 v[26:27], v[100:101], s[10:11], v[60:61]
	v_mul_f64 v[60:61], v[100:101], s[22:23]
	v_add_f64 v[6:7], v[184:185], v[6:7]
	v_mul_f64 v[184:185], v[128:129], s[30:31]
	s_delay_alu instid0(VALU_DEP_4) | instskip(NEXT) | instid1(VALU_DEP_4)
	v_add_f64 v[14:15], v[26:27], v[14:15]
	v_add_f64 v[60:61], v[60:61], v[154:155]
	v_mul_f64 v[154:155], v[118:119], s[38:39]
	s_delay_alu instid0(VALU_DEP_4) | instskip(SKIP_2) | instid1(VALU_DEP_3)
	v_fma_f64 v[186:187], v[102:103], s[18:19], v[184:185]
	v_fma_f64 v[26:27], v[102:103], s[18:19], -v[184:185]
	v_mul_f64 v[184:185], v[90:91], s[42:43]
	v_add_f64 v[4:5], v[186:187], v[4:5]
	v_mul_f64 v[186:187], v[120:121], s[30:31]
	s_delay_alu instid0(VALU_DEP_4) | instskip(NEXT) | instid1(VALU_DEP_2)
	v_add_f64 v[12:13], v[26:27], v[12:13]
	v_fma_f64 v[26:27], v[104:105], s[18:19], v[186:187]
	v_fma_f64 v[188:189], v[104:105], s[18:19], -v[186:187]
	v_mul_f64 v[186:187], v[112:113], s[16:17]
	s_delay_alu instid0(VALU_DEP_3) | instskip(SKIP_1) | instid1(VALU_DEP_4)
	v_add_f64 v[26:27], v[26:27], v[14:15]
	v_fma_f64 v[14:15], v[110:111], s[12:13], -v[190:191]
	v_add_f64 v[188:189], v[188:189], v[6:7]
	v_fma_f64 v[6:7], v[110:111], s[12:13], v[190:191]
	v_mul_f64 v[190:191], v[116:117], s[36:37]
	s_delay_alu instid0(VALU_DEP_4)
	v_add_f64 v[14:15], v[14:15], v[12:13]
	v_add_f64 v[12:13], v[28:29], v[26:27]
	v_fma_f64 v[26:27], v[76:77], s[18:19], -v[146:147]
	v_add_f64 v[6:7], v[6:7], v[4:5]
	v_fma_f64 v[4:5], v[114:115], s[12:13], -v[192:193]
	v_mul_f64 v[192:193], v[106:107], s[36:37]
	v_mul_f64 v[28:29], v[94:95], s[14:15]
	v_add_f64 v[20:21], v[26:27], v[20:21]
	v_fma_f64 v[26:27], v[78:79], s[18:19], v[184:185]
	v_add_f64 v[4:5], v[4:5], v[188:189]
	v_mul_f64 v[188:189], v[92:93], s[16:17]
	v_add_f64 v[28:29], v[134:135], -v[28:29]
	v_mul_f64 v[134:135], v[112:113], s[28:29]
	v_add_f64 v[22:23], v[26:27], v[22:23]
	v_fma_f64 v[26:27], v[80:81], s[6:7], -v[186:187]
	s_delay_alu instid0(VALU_DEP_4) | instskip(NEXT) | instid1(VALU_DEP_2)
	v_add_f64 v[28:29], v[28:29], v[166:167]
	v_add_f64 v[20:21], v[26:27], v[20:21]
	v_fma_f64 v[26:27], v[82:83], s[6:7], v[188:189]
	s_delay_alu instid0(VALU_DEP_3)
	v_add_f64 v[24:25], v[24:25], v[28:29]
	v_add_f64 v[28:29], v[32:33], v[38:39]
	v_mul_f64 v[32:33], v[128:129], s[36:37]
	v_mul_f64 v[38:39], v[114:115], s[26:27]
	v_add_f64 v[22:23], v[26:27], v[22:23]
	v_fma_f64 v[26:27], v[84:85], s[24:25], -v[190:191]
	s_delay_alu instid0(VALU_DEP_4) | instskip(NEXT) | instid1(VALU_DEP_4)
	v_add_f64 v[32:33], v[164:165], -v[32:33]
	v_add_f64 v[38:39], v[38:39], v[162:163]
	v_mul_f64 v[162:163], v[130:131], s[30:31]
	v_mul_f64 v[164:165], v[126:127], s[30:31]
	v_add_f64 v[20:21], v[26:27], v[20:21]
	v_fma_f64 v[26:27], v[86:87], s[24:25], v[192:193]
	s_delay_alu instid0(VALU_DEP_1) | instskip(SKIP_1) | instid1(VALU_DEP_1)
	v_add_f64 v[22:23], v[26:27], v[22:23]
	v_fma_f64 v[26:27], v[88:89], s[12:13], -v[194:195]
	v_add_f64 v[20:21], v[26:27], v[20:21]
	v_fma_f64 v[26:27], v[96:97], s[12:13], v[196:197]
	s_delay_alu instid0(VALU_DEP_1) | instskip(SKIP_1) | instid1(VALU_DEP_1)
	v_add_f64 v[22:23], v[26:27], v[22:23]
	v_fma_f64 v[26:27], v[98:99], s[2:3], -v[198:199]
	;; [unrolled: 5-line block ×4, first 2 shown]
	v_add_f64 v[22:23], v[22:23], v[20:21]
	v_fma_f64 v[20:21], v[114:115], s[10:11], v[208:209]
	s_delay_alu instid0(VALU_DEP_1) | instskip(SKIP_1) | instid1(VALU_DEP_1)
	v_add_f64 v[20:21], v[20:21], v[26:27]
	v_mul_f64 v[26:27], v[116:117], s[28:29]
	v_add_f64 v[26:27], v[142:143], -v[26:27]
	v_mul_f64 v[142:143], v[122:123], s[16:17]
	s_delay_alu instid0(VALU_DEP_2) | instskip(SKIP_3) | instid1(VALU_DEP_4)
	v_add_f64 v[24:25], v[26:27], v[24:25]
	v_add_f64 v[26:27], v[30:31], v[28:29]
	v_mul_f64 v[28:29], v[104:105], s[24:25]
	v_mul_f64 v[30:31], v[130:131], s[38:39]
	v_add_f64 v[24:25], v[42:43], v[24:25]
	s_delay_alu instid0(VALU_DEP_4) | instskip(NEXT) | instid1(VALU_DEP_4)
	v_add_f64 v[26:27], v[44:45], v[26:27]
	v_add_f64 v[28:29], v[28:29], v[160:161]
	s_delay_alu instid0(VALU_DEP_4)
	v_add_f64 v[30:31], v[168:169], -v[30:31]
	v_mul_f64 v[160:161], v[120:121], s[46:47]
	v_mul_f64 v[42:43], v[112:113], s[34:35]
	s_mov_b32 s47, 0x3fefdd0d
	s_mov_b32 s46, s36
	v_add_f64 v[24:25], v[46:47], v[24:25]
	v_add_f64 v[26:27], v[60:61], v[26:27]
	v_mul_f64 v[60:61], v[94:95], s[20:21]
	s_delay_alu instid0(VALU_DEP_4) | instskip(SKIP_4) | instid1(VALU_DEP_3)
	v_fma_f64 v[44:45], v[80:81], s[22:23], -v[42:43]
	v_fma_f64 v[42:43], v[80:81], s[22:23], v[42:43]
	v_add_f64 v[24:25], v[32:33], v[24:25]
	v_add_f64 v[28:29], v[28:29], v[26:27]
	v_fma_f64 v[32:33], v[80:81], s[12:13], -v[134:135]
	v_add_f64 v[26:27], v[30:31], v[24:25]
	s_delay_alu instid0(VALU_DEP_3) | instskip(SKIP_4) | instid1(VALU_DEP_4)
	v_add_f64 v[24:25], v[38:39], v[28:29]
	v_fma_f64 v[28:29], v[76:77], s[10:11], -v[60:61]
	v_fma_f64 v[30:31], v[78:79], s[10:11], v[132:133]
	v_mul_f64 v[38:39], v[90:91], s[28:29]
	v_fma_f64 v[60:61], v[76:77], s[10:11], v[60:61]
	v_add_f64 v[28:29], v[28:29], v[36:37]
	s_delay_alu instid0(VALU_DEP_4) | instskip(SKIP_1) | instid1(VALU_DEP_4)
	v_add_f64 v[30:31], v[30:31], v[50:51]
	v_mul_f64 v[36:37], v[94:95], s[28:29]
	v_add_f64 v[60:61], v[60:61], v[158:159]
	s_delay_alu instid0(VALU_DEP_4) | instskip(SKIP_1) | instid1(VALU_DEP_1)
	v_add_f64 v[28:29], v[32:33], v[28:29]
	v_fma_f64 v[32:33], v[82:83], s[12:13], v[136:137]
	v_add_f64 v[30:31], v[32:33], v[30:31]
	v_fma_f64 v[32:33], v[84:85], s[22:23], -v[138:139]
	s_delay_alu instid0(VALU_DEP_1) | instskip(SKIP_1) | instid1(VALU_DEP_1)
	v_add_f64 v[28:29], v[32:33], v[28:29]
	v_fma_f64 v[32:33], v[86:87], s[22:23], v[140:141]
	v_add_f64 v[30:31], v[32:33], v[30:31]
	v_fma_f64 v[32:33], v[88:89], s[6:7], -v[142:143]
	s_delay_alu instid0(VALU_DEP_1) | instskip(SKIP_1) | instid1(VALU_DEP_1)
	;; [unrolled: 5-line block ×5, first 2 shown]
	v_add_f64 v[30:31], v[30:31], v[28:29]
	v_fma_f64 v[28:29], v[114:115], s[18:19], v[164:165]
	v_add_f64 v[28:29], v[28:29], v[32:33]
	v_fma_f64 v[32:33], v[76:77], s[12:13], -v[36:37]
	v_fma_f64 v[36:37], v[76:77], s[12:13], v[36:37]
	s_delay_alu instid0(VALU_DEP_2) | instskip(SKIP_1) | instid1(VALU_DEP_3)
	v_add_f64 v[32:33], v[32:33], v[34:35]
	v_fma_f64 v[34:35], v[78:79], s[12:13], v[38:39]
	v_add_f64 v[36:37], v[36:37], v[152:153]
	v_fma_f64 v[38:39], v[78:79], s[12:13], -v[38:39]
	s_delay_alu instid0(VALU_DEP_4) | instskip(SKIP_2) | instid1(VALU_DEP_4)
	v_add_f64 v[32:33], v[44:45], v[32:33]
	v_mul_f64 v[44:45], v[92:93], s[34:35]
	v_add_f64 v[34:35], v[34:35], v[48:49]
	v_add_f64 v[38:39], v[38:39], v[62:63]
	v_add_f64 v[36:37], v[42:43], v[36:37]
	s_delay_alu instid0(VALU_DEP_4) | instskip(SKIP_2) | instid1(VALU_DEP_3)
	v_fma_f64 v[46:47], v[82:83], s[22:23], v[44:45]
	v_fma_f64 v[42:43], v[82:83], s[22:23], -v[44:45]
	v_fma_f64 v[44:45], v[114:115], s[6:7], -v[218:219]
	v_add_f64 v[34:35], v[46:47], v[34:35]
	v_mul_f64 v[46:47], v[116:117], s[38:39]
	s_delay_alu instid0(VALU_DEP_4) | instskip(NEXT) | instid1(VALU_DEP_2)
	v_add_f64 v[38:39], v[42:43], v[38:39]
	v_fma_f64 v[48:49], v[84:85], s[26:27], -v[46:47]
	v_fma_f64 v[42:43], v[84:85], s[26:27], v[46:47]
	v_mul_f64 v[46:47], v[90:91], s[44:45]
	s_delay_alu instid0(VALU_DEP_3) | instskip(SKIP_1) | instid1(VALU_DEP_4)
	v_add_f64 v[32:33], v[48:49], v[32:33]
	v_mul_f64 v[48:49], v[106:107], s[38:39]
	v_add_f64 v[36:37], v[42:43], v[36:37]
	s_delay_alu instid0(VALU_DEP_2) | instskip(SKIP_2) | instid1(VALU_DEP_3)
	v_fma_f64 v[50:51], v[86:87], s[26:27], v[48:49]
	v_fma_f64 v[42:43], v[86:87], s[26:27], -v[48:49]
	v_mul_f64 v[48:49], v[112:113], s[38:39]
	v_add_f64 v[34:35], v[50:51], v[34:35]
	v_mul_f64 v[50:51], v[122:123], s[46:47]
	s_delay_alu instid0(VALU_DEP_4) | instskip(NEXT) | instid1(VALU_DEP_2)
	v_add_f64 v[38:39], v[42:43], v[38:39]
	v_fma_f64 v[166:167], v[88:89], s[24:25], -v[50:51]
	v_fma_f64 v[42:43], v[88:89], s[24:25], v[50:51]
	v_fma_f64 v[50:51], v[80:81], s[26:27], v[48:49]
	v_fma_f64 v[48:49], v[80:81], s[26:27], -v[48:49]
	s_delay_alu instid0(VALU_DEP_4) | instskip(SKIP_2) | instid1(VALU_DEP_2)
	v_add_f64 v[32:33], v[166:167], v[32:33]
	v_mul_f64 v[166:167], v[108:109], s[46:47]
	v_add_f64 v[36:37], v[42:43], v[36:37]
	v_fma_f64 v[168:169], v[96:97], s[24:25], v[166:167]
	v_fma_f64 v[42:43], v[96:97], s[24:25], -v[166:167]
	s_delay_alu instid0(VALU_DEP_2) | instskip(SKIP_1) | instid1(VALU_DEP_3)
	v_add_f64 v[34:35], v[168:169], v[34:35]
	v_mul_f64 v[168:169], v[124:125], s[42:43]
	v_add_f64 v[38:39], v[42:43], v[38:39]
	s_delay_alu instid0(VALU_DEP_2) | instskip(SKIP_1) | instid1(VALU_DEP_2)
	v_fma_f64 v[170:171], v[98:99], s[18:19], -v[168:169]
	v_fma_f64 v[42:43], v[98:99], s[18:19], v[168:169]
	v_add_f64 v[32:33], v[170:171], v[32:33]
	v_mul_f64 v[170:171], v[118:119], s[42:43]
	s_delay_alu instid0(VALU_DEP_3) | instskip(NEXT) | instid1(VALU_DEP_2)
	v_add_f64 v[36:37], v[42:43], v[36:37]
	v_fma_f64 v[210:211], v[100:101], s[18:19], v[170:171]
	v_fma_f64 v[42:43], v[100:101], s[18:19], -v[170:171]
	s_delay_alu instid0(VALU_DEP_2) | instskip(SKIP_1) | instid1(VALU_DEP_3)
	v_add_f64 v[34:35], v[210:211], v[34:35]
	v_mul_f64 v[210:211], v[128:129], s[20:21]
	v_add_f64 v[38:39], v[42:43], v[38:39]
	s_delay_alu instid0(VALU_DEP_2) | instskip(SKIP_1) | instid1(VALU_DEP_2)
	v_fma_f64 v[212:213], v[102:103], s[10:11], -v[210:211]
	v_fma_f64 v[42:43], v[102:103], s[10:11], v[210:211]
	v_add_f64 v[32:33], v[212:213], v[32:33]
	v_mul_f64 v[212:213], v[120:121], s[20:21]
	s_delay_alu instid0(VALU_DEP_3) | instskip(NEXT) | instid1(VALU_DEP_2)
	v_add_f64 v[36:37], v[42:43], v[36:37]
	v_fma_f64 v[42:43], v[104:105], s[10:11], -v[212:213]
	v_fma_f64 v[214:215], v[104:105], s[10:11], v[212:213]
	s_delay_alu instid0(VALU_DEP_2) | instskip(SKIP_1) | instid1(VALU_DEP_3)
	v_add_f64 v[42:43], v[42:43], v[38:39]
	v_fma_f64 v[38:39], v[110:111], s[6:7], v[216:217]
	v_add_f64 v[214:215], v[214:215], v[34:35]
	v_fma_f64 v[34:35], v[110:111], s[6:7], -v[216:217]
	v_mul_f64 v[216:217], v[130:131], s[46:47]
	s_delay_alu instid0(VALU_DEP_4)
	v_add_f64 v[38:39], v[38:39], v[36:37]
	v_add_f64 v[36:37], v[44:45], v[42:43]
	v_mul_f64 v[44:45], v[94:95], s[44:45]
	v_add_f64 v[34:35], v[34:35], v[32:33]
	v_fma_f64 v[32:33], v[114:115], s[6:7], v[218:219]
	v_mul_f64 v[218:219], v[126:127], s[46:47]
	v_mul_f64 v[126:127], v[126:127], s[14:15]
	v_fma_f64 v[42:43], v[76:77], s[22:23], v[44:45]
	v_fma_f64 v[44:45], v[76:77], s[22:23], -v[44:45]
	v_add_f64 v[32:33], v[32:33], v[214:215]
	s_delay_alu instid0(VALU_DEP_3) | instskip(SKIP_1) | instid1(VALU_DEP_4)
	v_add_f64 v[40:41], v[42:43], v[40:41]
	v_fma_f64 v[42:43], v[78:79], s[22:23], -v[46:47]
	v_add_f64 v[44:45], v[44:45], v[66:67]
	v_fma_f64 v[46:47], v[78:79], s[22:23], v[46:47]
	v_mul_f64 v[66:67], v[94:95], s[36:37]
	v_add_f64 v[40:41], v[50:51], v[40:41]
	v_mul_f64 v[50:51], v[92:93], s[38:39]
	v_add_f64 v[42:43], v[42:43], v[52:53]
	v_add_f64 v[46:47], v[46:47], v[54:55]
	;; [unrolled: 1-line block ×3, first 2 shown]
	s_mov_b32 s39, 0x3fe0d888
	s_delay_alu instid0(VALU_DEP_4) | instskip(SKIP_2) | instid1(VALU_DEP_3)
	v_fma_f64 v[52:53], v[82:83], s[26:27], -v[50:51]
	v_fma_f64 v[48:49], v[82:83], s[26:27], v[50:51]
	v_fma_f64 v[50:51], v[114:115], s[24:25], v[218:219]
	v_add_f64 v[42:43], v[52:53], v[42:43]
	v_mul_f64 v[52:53], v[116:117], s[30:31]
	s_delay_alu instid0(VALU_DEP_4) | instskip(NEXT) | instid1(VALU_DEP_2)
	v_add_f64 v[46:47], v[48:49], v[46:47]
	v_fma_f64 v[62:63], v[84:85], s[18:19], v[52:53]
	v_fma_f64 v[48:49], v[84:85], s[18:19], -v[52:53]
	s_delay_alu instid0(VALU_DEP_2) | instskip(SKIP_1) | instid1(VALU_DEP_3)
	v_add_f64 v[40:41], v[62:63], v[40:41]
	v_mul_f64 v[62:63], v[106:107], s[30:31]
	v_add_f64 v[44:45], v[48:49], v[44:45]
	s_delay_alu instid0(VALU_DEP_2) | instskip(SKIP_2) | instid1(VALU_DEP_3)
	v_fma_f64 v[152:153], v[86:87], s[18:19], -v[62:63]
	v_fma_f64 v[48:49], v[86:87], s[18:19], v[62:63]
	v_mul_f64 v[62:63], v[90:91], s[38:39]
	v_add_f64 v[42:43], v[152:153], v[42:43]
	v_mul_f64 v[152:153], v[122:123], s[14:15]
	s_delay_alu instid0(VALU_DEP_4) | instskip(NEXT) | instid1(VALU_DEP_4)
	v_add_f64 v[46:47], v[48:49], v[46:47]
	v_fma_f64 v[54:55], v[78:79], s[26:27], v[62:63]
	v_fma_f64 v[62:63], v[78:79], s[26:27], -v[62:63]
	s_delay_alu instid0(VALU_DEP_4)
	v_fma_f64 v[166:167], v[88:89], s[2:3], v[152:153]
	v_fma_f64 v[48:49], v[88:89], s[2:3], -v[152:153]
	v_mul_f64 v[152:153], v[90:91], s[36:37]
	v_add_f64 v[54:55], v[54:55], v[56:57]
	v_mul_f64 v[56:57], v[112:113], s[30:31]
	v_add_f64 v[62:63], v[62:63], v[70:71]
	v_fma_f64 v[70:71], v[114:115], s[22:23], -v[224:225]
	v_add_f64 v[40:41], v[166:167], v[40:41]
	v_mul_f64 v[166:167], v[108:109], s[14:15]
	v_add_f64 v[44:45], v[48:49], v[44:45]
	v_fma_f64 v[90:91], v[80:81], s[18:19], -v[56:57]
	v_fma_f64 v[56:57], v[80:81], s[18:19], v[56:57]
	s_delay_alu instid0(VALU_DEP_4) | instskip(SKIP_2) | instid1(VALU_DEP_3)
	v_fma_f64 v[168:169], v[96:97], s[2:3], -v[166:167]
	v_fma_f64 v[48:49], v[96:97], s[2:3], v[166:167]
	v_mul_f64 v[166:167], v[112:113], s[14:15]
	v_add_f64 v[42:43], v[168:169], v[42:43]
	v_mul_f64 v[168:169], v[124:125], s[40:41]
	s_delay_alu instid0(VALU_DEP_4) | instskip(NEXT) | instid1(VALU_DEP_4)
	v_add_f64 v[46:47], v[48:49], v[46:47]
	v_fma_f64 v[52:53], v[80:81], s[2:3], -v[166:167]
	s_delay_alu instid0(VALU_DEP_3) | instskip(SKIP_2) | instid1(VALU_DEP_3)
	v_fma_f64 v[170:171], v[98:99], s[6:7], v[168:169]
	v_fma_f64 v[48:49], v[98:99], s[6:7], -v[168:169]
	v_mul_f64 v[168:169], v[92:93], s[14:15]
	v_add_f64 v[40:41], v[170:171], v[40:41]
	v_mul_f64 v[170:171], v[118:119], s[40:41]
	s_delay_alu instid0(VALU_DEP_4) | instskip(NEXT) | instid1(VALU_DEP_2)
	v_add_f64 v[44:45], v[48:49], v[44:45]
	v_fma_f64 v[210:211], v[100:101], s[6:7], -v[170:171]
	v_fma_f64 v[48:49], v[100:101], s[6:7], v[170:171]
	v_mul_f64 v[170:171], v[116:117], s[20:21]
	s_delay_alu instid0(VALU_DEP_3) | instskip(SKIP_1) | instid1(VALU_DEP_4)
	v_add_f64 v[42:43], v[210:211], v[42:43]
	v_mul_f64 v[210:211], v[128:129], s[0:1]
	v_add_f64 v[46:47], v[48:49], v[46:47]
	s_delay_alu instid0(VALU_DEP_2) | instskip(SKIP_2) | instid1(VALU_DEP_3)
	v_fma_f64 v[212:213], v[102:103], s[12:13], v[210:211]
	v_fma_f64 v[48:49], v[102:103], s[12:13], -v[210:211]
	v_mul_f64 v[210:211], v[122:123], s[38:39]
	v_add_f64 v[40:41], v[212:213], v[40:41]
	v_mul_f64 v[212:213], v[120:121], s[0:1]
	s_delay_alu instid0(VALU_DEP_4) | instskip(SKIP_1) | instid1(VALU_DEP_3)
	v_add_f64 v[44:45], v[48:49], v[44:45]
	v_mul_f64 v[120:121], v[120:121], s[34:35]
	v_fma_f64 v[48:49], v[104:105], s[12:13], v[212:213]
	v_fma_f64 v[214:215], v[104:105], s[12:13], -v[212:213]
	v_mul_f64 v[212:213], v[108:109], s[38:39]
	v_mul_f64 v[108:109], v[108:109], s[20:21]
	s_delay_alu instid0(VALU_DEP_4) | instskip(SKIP_4) | instid1(VALU_DEP_4)
	v_add_f64 v[48:49], v[48:49], v[46:47]
	v_fma_f64 v[46:47], v[110:111], s[24:25], -v[216:217]
	v_add_f64 v[214:215], v[214:215], v[42:43]
	v_fma_f64 v[42:43], v[110:111], s[24:25], v[216:217]
	v_mul_f64 v[216:217], v[118:119], s[28:29]
	v_add_f64 v[46:47], v[46:47], v[44:45]
	v_add_f64 v[44:45], v[50:51], v[48:49]
	v_fma_f64 v[48:49], v[76:77], s[24:25], -v[66:67]
	v_fma_f64 v[50:51], v[78:79], s[24:25], v[152:153]
	v_add_f64 v[42:43], v[42:43], v[40:41]
	v_fma_f64 v[40:41], v[114:115], s[24:25], -v[218:219]
	v_mul_f64 v[218:219], v[128:129], s[40:41]
	v_add_f64 v[48:49], v[48:49], v[182:183]
	v_add_f64 v[50:51], v[50:51], v[58:59]
	v_mul_f64 v[182:183], v[106:107], s[20:21]
	v_add_f64 v[40:41], v[40:41], v[214:215]
	v_mul_f64 v[214:215], v[124:125], s[28:29]
	v_mul_f64 v[58:59], v[94:95], s[38:39]
	v_add_f64 v[48:49], v[52:53], v[48:49]
	v_fma_f64 v[52:53], v[82:83], s[2:3], v[168:169]
	s_delay_alu instid0(VALU_DEP_1) | instskip(SKIP_1) | instid1(VALU_DEP_1)
	v_add_f64 v[50:51], v[52:53], v[50:51]
	v_fma_f64 v[52:53], v[84:85], s[10:11], -v[170:171]
	v_add_f64 v[48:49], v[52:53], v[48:49]
	v_fma_f64 v[52:53], v[86:87], s[10:11], v[182:183]
	s_delay_alu instid0(VALU_DEP_1) | instskip(SKIP_1) | instid1(VALU_DEP_1)
	v_add_f64 v[50:51], v[52:53], v[50:51]
	v_fma_f64 v[52:53], v[88:89], s[26:27], -v[210:211]
	v_add_f64 v[48:49], v[52:53], v[48:49]
	v_fma_f64 v[52:53], v[96:97], s[26:27], v[212:213]
	s_delay_alu instid0(VALU_DEP_1) | instskip(SKIP_1) | instid1(VALU_DEP_1)
	v_add_f64 v[50:51], v[52:53], v[50:51]
	v_fma_f64 v[52:53], v[98:99], s[12:13], -v[214:215]
	v_add_f64 v[48:49], v[52:53], v[48:49]
	v_fma_f64 v[52:53], v[100:101], s[12:13], v[216:217]
	s_delay_alu instid0(VALU_DEP_1) | instskip(SKIP_1) | instid1(VALU_DEP_1)
	v_add_f64 v[50:51], v[52:53], v[50:51]
	v_fma_f64 v[52:53], v[102:103], s[6:7], -v[218:219]
	v_add_f64 v[48:49], v[52:53], v[48:49]
	v_fma_f64 v[52:53], v[104:105], s[6:7], v[220:221]
	s_delay_alu instid0(VALU_DEP_1) | instskip(SKIP_1) | instid1(VALU_DEP_1)
	v_add_f64 v[52:53], v[52:53], v[50:51]
	v_fma_f64 v[50:51], v[110:111], s[22:23], -v[222:223]
	v_add_f64 v[50:51], v[50:51], v[48:49]
	v_fma_f64 v[48:49], v[114:115], s[22:23], v[224:225]
	s_delay_alu instid0(VALU_DEP_1) | instskip(SKIP_2) | instid1(VALU_DEP_2)
	v_add_f64 v[48:49], v[48:49], v[52:53]
	v_fma_f64 v[52:53], v[76:77], s[26:27], -v[58:59]
	v_fma_f64 v[58:59], v[76:77], s[26:27], v[58:59]
	v_add_f64 v[52:53], v[52:53], v[178:179]
	s_delay_alu instid0(VALU_DEP_2) | instskip(SKIP_1) | instid1(VALU_DEP_3)
	v_add_f64 v[58:59], v[58:59], v[68:69]
	v_fma_f64 v[68:69], v[114:115], s[2:3], -v[126:127]
	v_add_f64 v[52:53], v[90:91], v[52:53]
	v_mul_f64 v[90:91], v[92:93], s[30:31]
	s_delay_alu instid0(VALU_DEP_4) | instskip(NEXT) | instid1(VALU_DEP_2)
	v_add_f64 v[56:57], v[56:57], v[58:59]
	v_fma_f64 v[92:93], v[82:83], s[18:19], v[90:91]
	v_fma_f64 v[58:59], v[82:83], s[18:19], -v[90:91]
	s_delay_alu instid0(VALU_DEP_2) | instskip(SKIP_1) | instid1(VALU_DEP_3)
	v_add_f64 v[54:55], v[92:93], v[54:55]
	v_mul_f64 v[92:93], v[116:117], s[16:17]
	v_add_f64 v[58:59], v[58:59], v[62:63]
	s_delay_alu instid0(VALU_DEP_2) | instskip(SKIP_1) | instid1(VALU_DEP_2)
	v_fma_f64 v[94:95], v[84:85], s[6:7], -v[92:93]
	v_fma_f64 v[62:63], v[84:85], s[6:7], v[92:93]
	v_add_f64 v[52:53], v[94:95], v[52:53]
	v_mul_f64 v[94:95], v[106:107], s[16:17]
	s_delay_alu instid0(VALU_DEP_3) | instskip(NEXT) | instid1(VALU_DEP_2)
	v_add_f64 v[56:57], v[62:63], v[56:57]
	v_fma_f64 v[106:107], v[86:87], s[6:7], v[94:95]
	v_fma_f64 v[62:63], v[86:87], s[6:7], -v[94:95]
	s_delay_alu instid0(VALU_DEP_2) | instskip(SKIP_1) | instid1(VALU_DEP_3)
	v_add_f64 v[54:55], v[106:107], v[54:55]
	v_mul_f64 v[106:107], v[122:123], s[20:21]
	v_add_f64 v[58:59], v[62:63], v[58:59]
	s_delay_alu instid0(VALU_DEP_2) | instskip(SKIP_1) | instid1(VALU_DEP_2)
	v_fma_f64 v[112:113], v[88:89], s[10:11], -v[106:107]
	v_fma_f64 v[62:63], v[88:89], s[10:11], v[106:107]
	v_add_f64 v[52:53], v[112:113], v[52:53]
	v_fma_f64 v[112:113], v[96:97], s[10:11], v[108:109]
	s_delay_alu instid0(VALU_DEP_3) | instskip(SKIP_1) | instid1(VALU_DEP_3)
	v_add_f64 v[56:57], v[62:63], v[56:57]
	v_fma_f64 v[62:63], v[96:97], s[10:11], -v[108:109]
	v_add_f64 v[54:55], v[112:113], v[54:55]
	v_mul_f64 v[112:113], v[124:125], s[46:47]
	s_delay_alu instid0(VALU_DEP_3) | instskip(SKIP_1) | instid1(VALU_DEP_3)
	v_add_f64 v[58:59], v[62:63], v[58:59]
	v_mul_f64 v[124:125], v[130:131], s[14:15]
	v_fma_f64 v[116:117], v[98:99], s[24:25], -v[112:113]
	v_fma_f64 v[62:63], v[98:99], s[24:25], v[112:113]
	s_delay_alu instid0(VALU_DEP_2) | instskip(SKIP_1) | instid1(VALU_DEP_3)
	v_add_f64 v[52:53], v[116:117], v[52:53]
	v_mul_f64 v[116:117], v[118:119], s[46:47]
	v_add_f64 v[56:57], v[62:63], v[56:57]
	s_delay_alu instid0(VALU_DEP_2) | instskip(SKIP_1) | instid1(VALU_DEP_2)
	v_fma_f64 v[118:119], v[100:101], s[24:25], v[116:117]
	v_fma_f64 v[62:63], v[100:101], s[24:25], -v[116:117]
	v_add_f64 v[54:55], v[118:119], v[54:55]
	v_mul_f64 v[118:119], v[128:129], s[34:35]
	s_delay_alu instid0(VALU_DEP_3) | instskip(NEXT) | instid1(VALU_DEP_2)
	v_add_f64 v[58:59], v[62:63], v[58:59]
	v_fma_f64 v[62:63], v[102:103], s[22:23], v[118:119]
	v_fma_f64 v[122:123], v[102:103], s[22:23], -v[118:119]
	s_delay_alu instid0(VALU_DEP_2) | instskip(SKIP_1) | instid1(VALU_DEP_3)
	v_add_f64 v[56:57], v[62:63], v[56:57]
	v_fma_f64 v[62:63], v[104:105], s[22:23], -v[120:121]
	v_add_f64 v[52:53], v[122:123], v[52:53]
	v_fma_f64 v[122:123], v[104:105], s[22:23], v[120:121]
	s_delay_alu instid0(VALU_DEP_3) | instskip(SKIP_1) | instid1(VALU_DEP_3)
	v_add_f64 v[62:63], v[62:63], v[58:59]
	v_fma_f64 v[58:59], v[110:111], s[2:3], v[124:125]
	v_add_f64 v[122:123], v[122:123], v[54:55]
	v_fma_f64 v[54:55], v[110:111], s[2:3], -v[124:125]
	s_delay_alu instid0(VALU_DEP_3)
	v_add_f64 v[58:59], v[58:59], v[56:57]
	v_add_f64 v[56:57], v[68:69], v[62:63]
	v_fma_f64 v[62:63], v[78:79], s[10:11], -v[132:133]
	v_fma_f64 v[68:69], v[114:115], s[18:19], -v[164:165]
	v_add_f64 v[54:55], v[54:55], v[52:53]
	v_fma_f64 v[52:53], v[114:115], s[2:3], v[126:127]
	s_delay_alu instid0(VALU_DEP_4) | instskip(SKIP_1) | instid1(VALU_DEP_3)
	v_add_f64 v[62:63], v[62:63], v[64:65]
	v_fma_f64 v[64:65], v[80:81], s[12:13], v[134:135]
	v_add_f64 v[52:53], v[52:53], v[122:123]
	s_delay_alu instid0(VALU_DEP_2) | instskip(SKIP_1) | instid1(VALU_DEP_1)
	v_add_f64 v[60:61], v[64:65], v[60:61]
	v_fma_f64 v[64:65], v[82:83], s[12:13], -v[136:137]
	v_add_f64 v[62:63], v[64:65], v[62:63]
	v_fma_f64 v[64:65], v[84:85], s[22:23], v[138:139]
	s_delay_alu instid0(VALU_DEP_1) | instskip(SKIP_1) | instid1(VALU_DEP_1)
	v_add_f64 v[60:61], v[64:65], v[60:61]
	v_fma_f64 v[64:65], v[86:87], s[22:23], -v[140:141]
	v_add_f64 v[62:63], v[64:65], v[62:63]
	v_fma_f64 v[64:65], v[88:89], s[6:7], v[142:143]
	s_delay_alu instid0(VALU_DEP_1) | instskip(SKIP_1) | instid1(VALU_DEP_1)
	;; [unrolled: 5-line block ×4, first 2 shown]
	v_add_f64 v[60:61], v[64:65], v[60:61]
	v_fma_f64 v[64:65], v[104:105], s[2:3], -v[160:161]
	v_add_f64 v[64:65], v[64:65], v[62:63]
	v_fma_f64 v[62:63], v[110:111], s[18:19], v[162:163]
	s_delay_alu instid0(VALU_DEP_1) | instskip(NEXT) | instid1(VALU_DEP_3)
	v_add_f64 v[62:63], v[62:63], v[60:61]
	v_add_f64 v[60:61], v[68:69], v[64:65]
	v_fma_f64 v[64:65], v[76:77], s[24:25], v[66:67]
	v_fma_f64 v[66:67], v[78:79], s[24:25], -v[152:153]
	v_fma_f64 v[68:69], v[80:81], s[2:3], v[166:167]
	s_delay_alu instid0(VALU_DEP_3) | instskip(NEXT) | instid1(VALU_DEP_3)
	v_add_f64 v[64:65], v[64:65], v[180:181]
	v_add_f64 v[66:67], v[66:67], v[150:151]
	s_delay_alu instid0(VALU_DEP_2) | instskip(SKIP_1) | instid1(VALU_DEP_1)
	v_add_f64 v[64:65], v[68:69], v[64:65]
	v_fma_f64 v[68:69], v[82:83], s[2:3], -v[168:169]
	v_add_f64 v[66:67], v[68:69], v[66:67]
	v_fma_f64 v[68:69], v[84:85], s[10:11], v[170:171]
	s_delay_alu instid0(VALU_DEP_1) | instskip(SKIP_1) | instid1(VALU_DEP_1)
	v_add_f64 v[64:65], v[68:69], v[64:65]
	v_fma_f64 v[68:69], v[86:87], s[10:11], -v[182:183]
	v_add_f64 v[66:67], v[68:69], v[66:67]
	v_fma_f64 v[68:69], v[88:89], s[26:27], v[210:211]
	s_delay_alu instid0(VALU_DEP_1) | instskip(SKIP_1) | instid1(VALU_DEP_1)
	;; [unrolled: 5-line block ×4, first 2 shown]
	v_add_f64 v[64:65], v[68:69], v[64:65]
	v_fma_f64 v[68:69], v[104:105], s[6:7], -v[220:221]
	v_add_f64 v[68:69], v[68:69], v[66:67]
	v_fma_f64 v[66:67], v[110:111], s[22:23], v[222:223]
	s_delay_alu instid0(VALU_DEP_1) | instskip(NEXT) | instid1(VALU_DEP_3)
	v_add_f64 v[66:67], v[66:67], v[64:65]
	v_add_f64 v[64:65], v[70:71], v[68:69]
	v_fma_f64 v[68:69], v[76:77], s[18:19], v[146:147]
	v_fma_f64 v[70:71], v[78:79], s[18:19], -v[184:185]
	v_fma_f64 v[76:77], v[80:81], s[6:7], v[186:187]
	s_delay_alu instid0(VALU_DEP_3) | instskip(SKIP_1) | instid1(VALU_DEP_4)
	v_add_f64 v[18:19], v[68:69], v[18:19]
	v_fma_f64 v[68:69], v[82:83], s[6:7], -v[188:189]
	v_add_f64 v[16:17], v[70:71], v[16:17]
	v_fma_f64 v[70:71], v[84:85], s[24:25], v[190:191]
	s_delay_alu instid0(VALU_DEP_4) | instskip(SKIP_1) | instid1(VALU_DEP_4)
	v_add_f64 v[18:19], v[76:77], v[18:19]
	v_fma_f64 v[76:77], v[86:87], s[24:25], -v[192:193]
	v_add_f64 v[16:17], v[68:69], v[16:17]
	v_fma_f64 v[68:69], v[88:89], s[12:13], v[194:195]
	s_delay_alu instid0(VALU_DEP_4) | instskip(SKIP_1) | instid1(VALU_DEP_4)
	;; [unrolled: 5-line block ×5, first 2 shown]
	v_add_f64 v[18:19], v[70:71], v[18:19]
	v_fma_f64 v[70:71], v[114:115], s[10:11], -v[208:209]
	v_add_f64 v[16:17], v[76:77], v[16:17]
	s_delay_alu instid0(VALU_DEP_3) | instskip(SKIP_1) | instid1(VALU_DEP_3)
	v_add_f64 v[18:19], v[68:69], v[18:19]
	v_mul_u32_u24_e32 v68, 0x110, v72
	v_add_f64 v[16:17], v[70:71], v[16:17]
	s_delay_alu instid0(VALU_DEP_2)
	v_add3_u32 v68, 0, v68, v177
	ds_store_b128 v68, v[8:11]
	ds_store_b128 v68, v[20:23] offset:16
	ds_store_b128 v68, v[48:51] offset:32
	;; [unrolled: 1-line block ×16, first 2 shown]
.LBB0_12:
	s_or_b32 exec_lo, exec_lo, s33
	v_add_nc_u16 v62, v72, 0x55
	v_and_b32_e32 v4, 0xff, v72
	v_add_nc_u16 v60, v72, 0xaa
	v_add_nc_u32_e32 v12, 0xff, v72
	v_add_nc_u32_e32 v13, 0x154, v72
	v_and_b32_e32 v5, 0xff, v62
	v_mul_lo_u16 v64, 0xf1, v4
	v_and_b32_e32 v4, 0xff, v60
	v_add_nc_u32_e32 v14, 0x1a9, v72
	v_add_nc_u32_e32 v15, 0x1fe, v72
	v_mul_lo_u16 v63, 0xf1, v5
	v_and_b32_e32 v5, 0xffff, v12
	v_and_b32_e32 v6, 0xffff, v13
	v_mul_lo_u16 v61, 0xf1, v4
	v_lshrrev_b16 v71, 12, v64
	v_and_b32_e32 v7, 0xffff, v14
	v_mul_u32_u24_e32 v4, 0xf0f1, v5
	v_lshrrev_b16 v92, 12, v63
	v_and_b32_e32 v10, 0xffff, v15
	v_mul_u32_u24_e32 v6, 0xf0f1, v6
	v_lshrrev_b16 v93, 12, v61
	v_mul_lo_u16 v8, v71, 17
	v_mul_u32_u24_e32 v7, 0xf0f1, v7
	v_lshrrev_b32_e32 v94, 20, v4
	v_mul_lo_u16 v9, v92, 17
	v_mul_u32_u24_e32 v16, 0xf0f1, v10
	v_lshrrev_b32_e32 v95, 20, v6
	v_mul_lo_u16 v17, v93, 17
	v_sub_nc_u16 v5, v72, v8
	v_lshrrev_b32_e32 v98, 20, v7
	v_mul_lo_u16 v18, v94, 17
	v_sub_nc_u16 v8, v62, v9
	;; [unrolled: 3-line block ×3, first 2 shown]
	v_and_b32_e32 v5, 0xff, v5
	v_mul_lo_u16 v19, v98, 17
	v_sub_nc_u16 v12, v12, v18
	v_and_b32_e32 v8, 0xff, v8
	v_mul_lo_u16 v18, v99, 17
	v_sub_nc_u16 v13, v13, v16
	v_and_b32_e32 v16, 0xff, v17
	v_lshlrev_b32_e32 v96, 4, v5
	v_sub_nc_u16 v14, v14, v19
	v_and_b32_e32 v12, 0xffff, v12
	v_lshlrev_b32_e32 v97, 4, v8
	;; [unrolled: 3-line block ×3, first 2 shown]
	s_waitcnt lgkmcnt(0)
	s_barrier
	buffer_gl0_inv
	s_clause 0x1
	global_load_b128 v[4:7], v96, s[4:5]
	global_load_b128 v[8:11], v97, s[4:5]
	v_and_b32_e32 v16, 0xffff, v14
	v_lshlrev_b32_e32 v101, 4, v12
	v_and_b32_e32 v20, 0xffff, v15
	v_lshlrev_b32_e32 v102, 4, v13
	global_load_b128 v[12:15], v100, s[4:5]
	v_lshlrev_b32_e32 v103, 4, v16
	global_load_b128 v[16:19], v101, s[4:5]
	v_lshlrev_b32_e32 v104, 4, v20
	s_clause 0x2
	global_load_b128 v[20:23], v102, s[4:5]
	global_load_b128 v[24:27], v103, s[4:5]
	;; [unrolled: 1-line block ×3, first 2 shown]
	ds_load_b128 v[32:35], v73 offset:9520
	ds_load_b128 v[36:39], v73 offset:10880
	;; [unrolled: 1-line block ×8, first 2 shown]
	v_cmp_gt_u32_e64 s0, 0x44, v72
	s_waitcnt vmcnt(6) lgkmcnt(7)
	v_mul_f64 v[69:70], v[34:35], v[6:7]
	v_mul_f64 v[6:7], v[32:33], v[6:7]
	s_waitcnt vmcnt(5) lgkmcnt(6)
	v_mul_f64 v[76:77], v[38:39], v[10:11]
	v_mul_f64 v[10:11], v[36:37], v[10:11]
	;; [unrolled: 3-line block ×7, first 2 shown]
	v_fma_f64 v[69:70], v[32:33], v[4:5], v[69:70]
	v_fma_f64 v[88:89], v[34:35], v[4:5], -v[6:7]
	v_fma_f64 v[76:77], v[36:37], v[8:9], v[76:77]
	v_fma_f64 v[8:9], v[38:39], v[8:9], -v[10:11]
	;; [unrolled: 2-line block ×7, first 2 shown]
	ds_load_b128 v[4:7], v172
	ds_load_b128 v[16:19], v73 offset:1360
	ds_load_b128 v[20:23], v73 offset:2720
	;; [unrolled: 1-line block ×5, first 2 shown]
	s_waitcnt lgkmcnt(0)
	s_barrier
	buffer_gl0_inv
	v_add_f64 v[36:37], v[4:5], -v[69:70]
	v_add_f64 v[38:39], v[6:7], -v[88:89]
	v_add_f64 v[40:41], v[16:17], -v[76:77]
	v_add_f64 v[42:43], v[18:19], -v[8:9]
	v_add_f64 v[44:45], v[20:21], -v[10:11]
	v_add_f64 v[46:47], v[22:23], -v[12:13]
	v_add_f64 v[48:49], v[24:25], -v[14:15]
	v_add_f64 v[50:51], v[26:27], -v[78:79]
	v_add_f64 v[52:53], v[28:29], -v[80:81]
	v_add_f64 v[54:55], v[30:31], -v[82:83]
	v_add_f64 v[8:9], v[32:33], -v[84:85]
	v_add_f64 v[10:11], v[34:35], -v[90:91]
	v_add_f64 v[12:13], v[65:66], -v[56:57]
	v_add_f64 v[14:15], v[67:68], -v[58:59]
	v_fma_f64 v[56:57], v[4:5], 2.0, -v[36:37]
	v_fma_f64 v[58:59], v[6:7], 2.0, -v[38:39]
	v_fma_f64 v[76:77], v[16:17], 2.0, -v[40:41]
	v_fma_f64 v[78:79], v[18:19], 2.0, -v[42:43]
	v_fma_f64 v[20:21], v[20:21], 2.0, -v[44:45]
	v_fma_f64 v[22:23], v[22:23], 2.0, -v[46:47]
	v_fma_f64 v[24:25], v[24:25], 2.0, -v[48:49]
	v_fma_f64 v[26:27], v[26:27], 2.0, -v[50:51]
	v_fma_f64 v[28:29], v[28:29], 2.0, -v[52:53]
	v_fma_f64 v[30:31], v[30:31], 2.0, -v[54:55]
	v_fma_f64 v[4:5], v[32:33], 2.0, -v[8:9]
	v_fma_f64 v[6:7], v[34:35], 2.0, -v[10:11]
	v_fma_f64 v[16:17], v[65:66], 2.0, -v[12:13]
	v_fma_f64 v[18:19], v[67:68], 2.0, -v[14:15]
	v_and_b32_e32 v32, 0xffff, v71
	v_and_b32_e32 v33, 0xffff, v92
	;; [unrolled: 1-line block ×3, first 2 shown]
	v_mad_u32_u24 v35, 0x220, v94, 0
	v_mad_u32_u24 v65, 0x220, v95, 0
	;; [unrolled: 1-line block ×7, first 2 shown]
	v_add3_u32 v32, v32, v96, v177
	v_add3_u32 v33, v33, v97, v177
	;; [unrolled: 1-line block ×7, first 2 shown]
	ds_store_b128 v32, v[56:59]
	ds_store_b128 v32, v[36:39] offset:272
	ds_store_b128 v33, v[76:79]
	ds_store_b128 v33, v[40:43] offset:272
	;; [unrolled: 2-line block ×7, first 2 shown]
	s_waitcnt lgkmcnt(0)
	s_barrier
	buffer_gl0_inv
	ds_load_b128 v[24:27], v172
	ds_load_b128 v[20:23], v73 offset:1360
	ds_load_b128 v[44:47], v73 offset:3808
	;; [unrolled: 1-line block ×9, first 2 shown]
	s_and_saveexec_b32 s1, s0
	s_cbranch_execz .LBB0_14
; %bb.13:
	ds_load_b128 v[4:7], v73 offset:2720
	ds_load_b128 v[8:11], v73 offset:6528
	;; [unrolled: 1-line block ×5, first 2 shown]
.LBB0_14:
	s_or_b32 exec_lo, exec_lo, s1
	v_lshrrev_b16 v130, 13, v64
	v_lshrrev_b16 v131, 13, v63
	s_mov_b32 s2, 0x134454ff
	s_mov_b32 s3, 0xbfee6f0e
	;; [unrolled: 1-line block ×3, first 2 shown]
	v_mul_lo_u16 v64, v130, 34
	s_mov_b32 s6, s2
	s_mov_b32 s12, 0x4755a5e
	s_mov_b32 s13, 0xbfe2cf23
	s_mov_b32 s11, 0x3fe2cf23
	v_sub_nc_u16 v63, v72, v64
	v_mul_lo_u16 v64, v131, 34
	s_mov_b32 s10, s12
	s_mov_b32 s14, 0x372fe950
	;; [unrolled: 1-line block ×3, first 2 shown]
	v_and_b32_e32 v132, 0xff, v63
	v_sub_nc_u16 v62, v62, v64
	s_delay_alu instid0(VALU_DEP_2) | instskip(NEXT) | instid1(VALU_DEP_2)
	v_lshlrev_b32_e32 v70, 6, v132
	v_and_b32_e32 v133, 0xff, v62
	s_clause 0x2
	global_load_b128 v[62:65], v70, s[4:5] offset:272
	global_load_b128 v[66:69], v70, s[4:5] offset:288
	global_load_b128 v[76:79], v70, s[4:5] offset:304
	v_lshlrev_b32_e32 v71, 6, v133
	s_clause 0x4
	global_load_b128 v[80:83], v70, s[4:5] offset:320
	global_load_b128 v[84:87], v71, s[4:5] offset:272
	;; [unrolled: 1-line block ×5, first 2 shown]
	s_waitcnt vmcnt(0) lgkmcnt(0)
	s_barrier
	buffer_gl0_inv
	v_mul_f64 v[70:71], v[46:47], v[64:65]
	v_mul_f64 v[100:101], v[50:51], v[68:69]
	;; [unrolled: 1-line block ×16, first 2 shown]
	v_fma_f64 v[44:45], v[44:45], v[62:63], v[70:71]
	v_fma_f64 v[48:49], v[48:49], v[66:67], v[100:101]
	;; [unrolled: 1-line block ×3, first 2 shown]
	v_fma_f64 v[50:51], v[50:51], v[66:67], -v[68:69]
	v_fma_f64 v[54:55], v[54:55], v[76:77], -v[78:79]
	;; [unrolled: 1-line block ×3, first 2 shown]
	v_fma_f64 v[56:57], v[56:57], v[80:81], v[104:105]
	v_fma_f64 v[58:59], v[58:59], v[80:81], -v[82:83]
	v_fma_f64 v[32:33], v[32:33], v[88:89], v[108:109]
	v_fma_f64 v[36:37], v[36:37], v[92:93], v[110:111]
	v_fma_f64 v[34:35], v[34:35], v[88:89], -v[90:91]
	v_fma_f64 v[38:39], v[38:39], v[92:93], -v[94:95]
	v_fma_f64 v[28:29], v[28:29], v[84:85], v[106:107]
	v_fma_f64 v[30:31], v[30:31], v[84:85], -v[86:87]
	v_fma_f64 v[40:41], v[40:41], v[96:97], v[112:113]
	v_fma_f64 v[42:43], v[42:43], v[96:97], -v[98:99]
	v_add_f64 v[82:83], v[24:25], v[44:45]
	v_add_f64 v[62:63], v[48:49], v[52:53]
	;; [unrolled: 1-line block ×6, first 2 shown]
	v_add_f64 v[84:85], v[46:47], -v[58:59]
	v_add_f64 v[70:71], v[32:33], v[36:37]
	v_add_f64 v[94:95], v[44:45], -v[56:57]
	v_add_f64 v[78:79], v[34:35], v[38:39]
	v_add_f64 v[90:91], v[20:21], v[28:29]
	v_add_f64 v[86:87], v[50:51], -v[54:55]
	v_add_f64 v[76:77], v[28:29], v[40:41]
	v_add_f64 v[80:81], v[30:31], v[42:43]
	;; [unrolled: 1-line block ×3, first 2 shown]
	v_add_f64 v[96:97], v[30:31], -v[42:43]
	v_add_f64 v[98:99], v[28:29], -v[40:41]
	;; [unrolled: 1-line block ×16, first 2 shown]
	v_fma_f64 v[62:63], v[62:63], -0.5, v[24:25]
	v_fma_f64 v[66:67], v[66:67], -0.5, v[26:27]
	v_add_f64 v[50:51], v[88:89], v[50:51]
	v_fma_f64 v[24:25], v[64:65], -0.5, v[24:25]
	v_add_f64 v[64:65], v[48:49], -v[52:53]
	v_fma_f64 v[26:27], v[68:69], -0.5, v[26:27]
	v_fma_f64 v[70:71], v[70:71], -0.5, v[20:21]
	v_add_f64 v[68:69], v[34:35], -v[38:39]
	v_fma_f64 v[78:79], v[78:79], -0.5, v[22:23]
	;; [unrolled: 3-line block ×3, first 2 shown]
	v_add_f64 v[80:81], v[44:45], -v[48:49]
	v_add_f64 v[44:45], v[48:49], -v[44:45]
	v_add_f64 v[48:49], v[82:83], v[48:49]
	v_add_f64 v[32:33], v[90:91], v[32:33]
	;; [unrolled: 1-line block ×5, first 2 shown]
	v_fma_f64 v[82:83], v[84:85], s[2:3], v[62:63]
	v_fma_f64 v[62:63], v[84:85], s[6:7], v[62:63]
	;; [unrolled: 1-line block ×16, first 2 shown]
	v_add_f64 v[80:81], v[80:81], v[100:101]
	v_add_f64 v[100:101], v[104:105], v[106:107]
	;; [unrolled: 1-line block ×10, first 2 shown]
	v_fma_f64 v[36:37], v[86:87], s[12:13], v[82:83]
	v_fma_f64 v[38:39], v[86:87], s[10:11], v[62:63]
	;; [unrolled: 1-line block ×16, first 2 shown]
	v_add_f64 v[20:21], v[28:29], v[56:57]
	v_add_f64 v[22:23], v[30:31], v[58:59]
	;; [unrolled: 1-line block ×4, first 2 shown]
	v_fma_f64 v[28:29], v[80:81], s[14:15], v[36:37]
	v_fma_f64 v[32:33], v[80:81], s[14:15], v[38:39]
	v_fma_f64 v[30:31], v[100:101], s[14:15], v[52:53]
	v_fma_f64 v[34:35], v[100:101], s[14:15], v[54:55]
	v_fma_f64 v[36:37], v[44:45], s[14:15], v[48:49]
	v_fma_f64 v[40:41], v[44:45], s[14:15], v[50:51]
	v_fma_f64 v[38:39], v[46:47], s[14:15], v[62:63]
	v_fma_f64 v[42:43], v[46:47], s[14:15], v[64:65]
	v_fma_f64 v[44:45], v[102:103], s[14:15], v[66:67]
	v_fma_f64 v[46:47], v[106:107], s[14:15], v[84:85]
	v_fma_f64 v[48:49], v[102:103], s[14:15], v[68:69]
	v_fma_f64 v[50:51], v[106:107], s[14:15], v[76:77]
	v_fma_f64 v[52:53], v[104:105], s[14:15], v[70:71]
	v_fma_f64 v[56:57], v[104:105], s[14:15], v[82:83]
	v_fma_f64 v[54:55], v[108:109], s[14:15], v[86:87]
	v_fma_f64 v[58:59], v[108:109], s[14:15], v[88:89]
	v_and_b32_e32 v62, 0xffff, v130
	v_and_b32_e32 v63, 0xffff, v131
	v_lshlrev_b32_e32 v64, 4, v132
	v_lshlrev_b32_e32 v65, 4, v133
	s_delay_alu instid0(VALU_DEP_4) | instskip(NEXT) | instid1(VALU_DEP_4)
	v_mad_u32_u24 v62, 0xaa0, v62, 0
	v_mad_u32_u24 v63, 0xaa0, v63, 0
	s_delay_alu instid0(VALU_DEP_2) | instskip(NEXT) | instid1(VALU_DEP_2)
	v_add3_u32 v62, v62, v64, v177
	v_add3_u32 v63, v63, v65, v177
	ds_store_b128 v62, v[20:23]
	ds_store_b128 v62, v[28:31] offset:544
	ds_store_b128 v62, v[36:39] offset:1088
	;; [unrolled: 1-line block ×4, first 2 shown]
	ds_store_b128 v63, v[24:27]
	ds_store_b128 v63, v[44:47] offset:544
	ds_store_b128 v63, v[52:55] offset:1088
	;; [unrolled: 1-line block ×4, first 2 shown]
	s_and_saveexec_b32 s1, s0
	s_cbranch_execz .LBB0_16
; %bb.15:
	v_lshrrev_b16 v52, 13, v61
	s_delay_alu instid0(VALU_DEP_1) | instskip(NEXT) | instid1(VALU_DEP_1)
	v_mul_lo_u16 v20, v52, 34
	v_sub_nc_u16 v20, v60, v20
	s_delay_alu instid0(VALU_DEP_1) | instskip(NEXT) | instid1(VALU_DEP_1)
	v_and_b32_e32 v53, 0xff, v20
	v_lshlrev_b32_e32 v32, 6, v53
	s_clause 0x3
	global_load_b128 v[20:23], v32, s[4:5] offset:288
	global_load_b128 v[24:27], v32, s[4:5] offset:272
	global_load_b128 v[28:31], v32, s[4:5] offset:320
	global_load_b128 v[32:35], v32, s[4:5] offset:304
	s_waitcnt vmcnt(3)
	v_mul_f64 v[36:37], v[16:17], v[22:23]
	s_waitcnt vmcnt(2)
	v_mul_f64 v[38:39], v[8:9], v[26:27]
	s_waitcnt vmcnt(1)
	v_mul_f64 v[40:41], v[0:1], v[30:31]
	s_waitcnt vmcnt(0)
	v_mul_f64 v[42:43], v[12:13], v[34:35]
	v_mul_f64 v[22:23], v[18:19], v[22:23]
	v_mul_f64 v[34:35], v[14:15], v[34:35]
	;; [unrolled: 1-line block ×4, first 2 shown]
	v_fma_f64 v[18:19], v[18:19], v[20:21], -v[36:37]
	v_fma_f64 v[10:11], v[10:11], v[24:25], -v[38:39]
	;; [unrolled: 1-line block ×4, first 2 shown]
	v_fma_f64 v[16:17], v[16:17], v[20:21], v[22:23]
	v_fma_f64 v[12:13], v[12:13], v[32:33], v[34:35]
	;; [unrolled: 1-line block ×4, first 2 shown]
	v_add_f64 v[32:33], v[6:7], v[10:11]
	v_add_f64 v[20:21], v[10:11], v[2:3]
	;; [unrolled: 1-line block ×3, first 2 shown]
	v_add_f64 v[36:37], v[10:11], -v[2:3]
	v_add_f64 v[24:25], v[16:17], v[12:13]
	v_add_f64 v[34:35], v[4:5], v[8:9]
	;; [unrolled: 1-line block ×3, first 2 shown]
	v_add_f64 v[28:29], v[16:17], -v[12:13]
	v_add_f64 v[30:31], v[8:9], -v[0:1]
	;; [unrolled: 1-line block ×8, first 2 shown]
	v_fma_f64 v[20:21], v[20:21], -0.5, v[6:7]
	v_fma_f64 v[6:7], v[22:23], -0.5, v[6:7]
	v_add_f64 v[22:23], v[18:19], -v[14:15]
	v_fma_f64 v[24:25], v[24:25], -0.5, v[4:5]
	v_add_f64 v[16:17], v[34:35], v[16:17]
	v_fma_f64 v[4:5], v[26:27], -0.5, v[4:5]
	v_add_f64 v[26:27], v[18:19], -v[10:11]
	v_add_f64 v[10:11], v[10:11], -v[18:19]
	v_add_f64 v[18:19], v[32:33], v[18:19]
	v_fma_f64 v[32:33], v[28:29], s[6:7], v[20:21]
	v_fma_f64 v[20:21], v[28:29], s[2:3], v[20:21]
	;; [unrolled: 1-line block ×8, first 2 shown]
	v_add_f64 v[26:27], v[26:27], v[38:39]
	v_add_f64 v[38:39], v[10:11], v[40:41]
	;; [unrolled: 1-line block ×6, first 2 shown]
	v_fma_f64 v[12:13], v[30:31], s[12:13], v[32:33]
	v_fma_f64 v[14:15], v[30:31], s[10:11], v[20:21]
	;; [unrolled: 1-line block ×8, first 2 shown]
	v_add_f64 v[2:3], v[8:9], v[2:3]
	v_add_f64 v[0:1], v[10:11], v[0:1]
	v_fma_f64 v[6:7], v[26:27], s[14:15], v[12:13]
	v_fma_f64 v[10:11], v[26:27], s[14:15], v[14:15]
	;; [unrolled: 1-line block ×8, first 2 shown]
	v_and_b32_e32 v20, 0xffff, v52
	v_lshlrev_b32_e32 v21, 4, v53
	s_delay_alu instid0(VALU_DEP_2) | instskip(NEXT) | instid1(VALU_DEP_1)
	v_mad_u32_u24 v20, 0xaa0, v20, 0
	v_add3_u32 v20, v20, v21, v177
	ds_store_b128 v20, v[0:3]
	ds_store_b128 v20, v[16:19] offset:544
	ds_store_b128 v20, v[8:11] offset:1088
	ds_store_b128 v20, v[4:7] offset:1632
	ds_store_b128 v20, v[12:15] offset:2176
.LBB0_16:
	s_or_b32 exec_lo, exec_lo, s1
	v_mul_u32_u24_e32 v0, 6, v72
	s_waitcnt lgkmcnt(0)
	s_barrier
	buffer_gl0_inv
	s_mov_b32 s2, 0x36b3c0b5
	v_lshlrev_b32_e32 v36, 4, v0
	s_mov_b32 s6, 0xe976ee23
	s_mov_b32 s3, 0x3fac98ee
	;; [unrolled: 1-line block ×4, first 2 shown]
	v_add_co_u32 v16, s0, s4, v36
	s_delay_alu instid0(VALU_DEP_1)
	v_add_co_ci_u32_e64 v17, null, s5, 0, s0
	s_clause 0x3
	global_load_b128 v[0:3], v36, s[4:5] offset:2464
	global_load_b128 v[4:7], v36, s[4:5] offset:2448
	;; [unrolled: 1-line block ×4, first 2 shown]
	v_add_co_u32 v44, s0, 0x1fe0, v16
	s_delay_alu instid0(VALU_DEP_1)
	v_add_co_ci_u32_e64 v45, s0, 0, v17, s0
	s_mov_b32 s0, 0x37e14327
	s_mov_b32 s1, 0x3fe948f6
	;; [unrolled: 1-line block ×3, first 2 shown]
	s_clause 0x7
	global_load_b128 v[16:19], v[44:45], off offset:2448
	global_load_b128 v[20:23], v[44:45], off offset:2464
	;; [unrolled: 1-line block ×4, first 2 shown]
	global_load_b128 v[32:35], v36, s[4:5] offset:2480
	global_load_b128 v[36:39], v36, s[4:5] offset:2496
	global_load_b128 v[40:43], v[44:45], off offset:2480
	global_load_b128 v[44:47], v[44:45], off offset:2496
	ds_load_b128 v[48:51], v73 offset:2720
	ds_load_b128 v[52:55], v73 offset:5440
	;; [unrolled: 1-line block ×12, first 2 shown]
	s_mov_b32 s12, 0xaaaaaaaa
	s_mov_b32 s14, 0xb247c609
	;; [unrolled: 1-line block ×6, first 2 shown]
	s_waitcnt vmcnt(11) lgkmcnt(10)
	v_mul_f64 v[102:103], v[54:55], v[2:3]
	s_waitcnt vmcnt(10)
	v_mul_f64 v[100:101], v[50:51], v[6:7]
	v_mul_f64 v[6:7], v[48:49], v[6:7]
	;; [unrolled: 1-line block ×3, first 2 shown]
	s_waitcnt vmcnt(9) lgkmcnt(9)
	v_mul_f64 v[104:105], v[58:59], v[10:11]
	v_mul_f64 v[10:11], v[56:57], v[10:11]
	s_waitcnt vmcnt(8) lgkmcnt(8)
	v_mul_f64 v[106:107], v[62:63], v[14:15]
	v_mul_f64 v[14:15], v[60:61], v[14:15]
	;; [unrolled: 3-line block ×7, first 2 shown]
	s_waitcnt vmcnt(2)
	v_mul_f64 v[118:119], v[86:87], v[38:39]
	v_mul_f64 v[38:39], v[84:85], v[38:39]
	v_fma_f64 v[48:49], v[48:49], v[4:5], v[100:101]
	v_fma_f64 v[4:5], v[50:51], v[4:5], -v[6:7]
	v_fma_f64 v[6:7], v[52:53], v[0:1], v[102:103]
	v_fma_f64 v[0:1], v[54:55], v[0:1], -v[2:3]
	;; [unrolled: 2-line block ×4, first 2 shown]
	s_waitcnt vmcnt(1) lgkmcnt(1)
	v_mul_f64 v[14:15], v[94:95], v[42:43]
	v_mul_f64 v[42:43], v[92:93], v[42:43]
	s_waitcnt vmcnt(0) lgkmcnt(0)
	v_mul_f64 v[50:51], v[98:99], v[46:47]
	v_mul_f64 v[46:47], v[96:97], v[46:47]
	v_fma_f64 v[52:53], v[64:65], v[16:17], v[108:109]
	v_fma_f64 v[16:17], v[66:67], v[16:17], -v[18:19]
	v_fma_f64 v[18:19], v[68:69], v[20:21], v[110:111]
	v_fma_f64 v[20:21], v[70:71], v[20:21], -v[22:23]
	;; [unrolled: 2-line block ×6, first 2 shown]
	v_add_f64 v[38:39], v[48:49], v[2:3]
	v_add_f64 v[54:55], v[4:5], v[8:9]
	;; [unrolled: 1-line block ×4, first 2 shown]
	v_fma_f64 v[14:15], v[92:93], v[40:41], v[14:15]
	v_fma_f64 v[40:41], v[94:95], v[40:41], -v[42:43]
	v_fma_f64 v[42:43], v[96:97], v[44:45], v[50:51]
	v_fma_f64 v[44:45], v[98:99], v[44:45], -v[46:47]
	v_add_f64 v[10:11], v[6:7], -v[10:11]
	v_add_f64 v[12:13], v[0:1], -v[12:13]
	;; [unrolled: 1-line block ×3, first 2 shown]
	v_add_f64 v[46:47], v[52:53], v[22:23]
	v_add_f64 v[50:51], v[16:17], v[24:25]
	;; [unrolled: 1-line block ×4, first 2 shown]
	v_add_f64 v[18:19], v[18:19], -v[26:27]
	v_add_f64 v[20:21], v[20:21], -v[28:29]
	v_add_f64 v[64:65], v[30:31], v[34:35]
	v_add_f64 v[66:67], v[32:33], v[36:37]
	v_add_f64 v[30:31], v[34:35], -v[30:31]
	v_add_f64 v[32:33], v[36:37], -v[32:33]
	;; [unrolled: 1-line block ×5, first 2 shown]
	ds_load_b128 v[0:3], v172
	ds_load_b128 v[4:7], v73 offset:1360
	s_waitcnt lgkmcnt(0)
	s_barrier
	buffer_gl0_inv
	v_add_f64 v[36:37], v[56:57], v[38:39]
	v_add_f64 v[48:49], v[58:59], v[54:55]
	;; [unrolled: 1-line block ×4, first 2 shown]
	v_add_f64 v[14:15], v[42:43], -v[14:15]
	v_add_f64 v[40:41], v[44:45], -v[40:41]
	;; [unrolled: 1-line block ×3, first 2 shown]
	v_add_f64 v[24:25], v[60:61], v[46:47]
	v_add_f64 v[42:43], v[62:63], v[50:51]
	v_add_f64 v[44:45], v[38:39], -v[64:65]
	v_add_f64 v[52:53], v[54:55], -v[66:67]
	;; [unrolled: 1-line block ×11, first 2 shown]
	v_add_f64 v[10:11], v[30:31], v[10:11]
	v_add_f64 v[12:13], v[32:33], v[12:13]
	v_add_f64 v[30:31], v[34:35], -v[30:31]
	v_add_f64 v[32:33], v[8:9], -v[32:33]
	v_add_f64 v[36:37], v[64:65], v[36:37]
	v_add_f64 v[48:49], v[66:67], v[48:49]
	v_add_f64 v[64:65], v[46:47], -v[26:27]
	v_add_f64 v[66:67], v[50:51], -v[28:29]
	;; [unrolled: 1-line block ×4, first 2 shown]
	v_add_f64 v[18:19], v[14:15], v[18:19]
	v_add_f64 v[20:21], v[40:41], v[20:21]
	v_mul_f64 v[94:95], v[82:83], s[10:11]
	v_add_f64 v[14:15], v[22:23], -v[14:15]
	v_add_f64 v[24:25], v[26:27], v[24:25]
	v_add_f64 v[42:43], v[28:29], v[42:43]
	v_add_f64 v[26:27], v[26:27], -v[60:61]
	v_add_f64 v[28:29], v[28:29], -v[62:63]
	v_mul_f64 v[44:45], v[44:45], s[0:1]
	v_mul_f64 v[52:53], v[52:53], s[0:1]
	;; [unrolled: 1-line block ×7, first 2 shown]
	v_add_f64 v[40:41], v[16:17], -v[40:41]
	v_mul_f64 v[96:97], v[88:89], s[10:11]
	v_mul_f64 v[98:99], v[90:91], s[10:11]
	v_add_f64 v[46:47], v[60:61], -v[46:47]
	v_add_f64 v[50:51], v[62:63], -v[50:51]
	v_add_f64 v[10:11], v[10:11], v[34:35]
	v_add_f64 v[8:9], v[12:13], v[8:9]
	;; [unrolled: 1-line block ×4, first 2 shown]
	v_mul_f64 v[64:65], v[64:65], s[0:1]
	v_mul_f64 v[66:67], v[66:67], s[0:1]
	;; [unrolled: 1-line block ×4, first 2 shown]
	s_mov_b32 s0, 0x5476071b
	s_mov_b32 s1, 0x3fe77f67
	;; [unrolled: 1-line block ×4, first 2 shown]
	v_add_f64 v[4:5], v[4:5], v[24:25]
	v_add_f64 v[6:7], v[6:7], v[42:43]
	v_mul_f64 v[60:61], v[26:27], s[2:3]
	v_mul_f64 v[62:63], v[28:29], s[2:3]
	v_add_f64 v[12:13], v[18:19], v[22:23]
	v_add_f64 v[16:17], v[20:21], v[16:17]
	v_fma_f64 v[18:19], v[68:69], s[2:3], v[44:45]
	v_fma_f64 v[20:21], v[70:71], s[2:3], v[52:53]
	v_fma_f64 v[22:23], v[38:39], s[0:1], -v[56:57]
	v_fma_f64 v[34:35], v[54:55], s[0:1], -v[58:59]
	v_fma_f64 v[56:57], v[30:31], s[14:15], v[76:77]
	v_fma_f64 v[58:59], v[32:33], s[14:15], v[78:79]
	v_fma_f64 v[68:69], v[80:81], s[10:11], -v[76:77]
	v_fma_f64 v[70:71], v[82:83], s[10:11], -v[78:79]
	;; [unrolled: 1-line block ×6, first 2 shown]
	v_fma_f64 v[36:37], v[36:37], s[12:13], v[0:1]
	v_fma_f64 v[48:49], v[48:49], s[12:13], v[2:3]
	v_fma_f64 v[26:27], v[26:27], s[2:3], v[64:65]
	v_fma_f64 v[28:29], v[28:29], s[2:3], v[66:67]
	v_fma_f64 v[52:53], v[14:15], s[14:15], v[84:85]
	v_fma_f64 v[54:55], v[40:41], s[14:15], v[86:87]
	v_fma_f64 v[76:77], v[88:89], s[10:11], -v[84:85]
	v_fma_f64 v[78:79], v[90:91], s[10:11], -v[86:87]
	;; [unrolled: 1-line block ×4, first 2 shown]
	v_fma_f64 v[24:25], v[24:25], s[12:13], v[4:5]
	v_fma_f64 v[42:43], v[42:43], s[12:13], v[6:7]
	v_fma_f64 v[64:65], v[46:47], s[6:7], -v[64:65]
	v_fma_f64 v[66:67], v[50:51], s[6:7], -v[66:67]
	;; [unrolled: 1-line block ×4, first 2 shown]
	s_mov_b32 s0, 0x37c3f68c
	s_mov_b32 s1, 0xbfdc38aa
	s_mov_b32 s3, exec_lo
	v_fma_f64 v[56:57], v[10:11], s[0:1], v[56:57]
	v_fma_f64 v[58:59], v[8:9], s[0:1], v[58:59]
	;; [unrolled: 1-line block ×6, first 2 shown]
	v_add_f64 v[68:69], v[18:19], v[36:37]
	v_add_f64 v[70:71], v[20:21], v[48:49]
	;; [unrolled: 1-line block ×6, first 2 shown]
	v_fma_f64 v[80:81], v[12:13], s[0:1], v[52:53]
	v_fma_f64 v[52:53], v[16:17], s[0:1], v[54:55]
	v_fma_f64 v[48:49], v[12:13], s[0:1], v[76:77]
	v_fma_f64 v[54:55], v[16:17], s[0:1], v[78:79]
	v_fma_f64 v[76:77], v[12:13], s[0:1], v[14:15]
	v_fma_f64 v[78:79], v[16:17], s[0:1], v[40:41]
	v_add_f64 v[82:83], v[26:27], v[24:25]
	v_add_f64 v[84:85], v[28:29], v[42:43]
	;; [unrolled: 1-line block ×6, first 2 shown]
	s_add_u32 s1, s4, 0x4950
	s_addc_u32 s2, s5, 0
	v_add_f64 v[8:9], v[58:59], v[68:69]
	v_add_f64 v[10:11], v[70:71], -v[56:57]
	v_add_f64 v[12:13], v[32:33], v[38:39]
	v_add_f64 v[14:15], v[44:45], -v[30:31]
	v_add_f64 v[16:17], v[20:21], -v[62:63]
	v_add_f64 v[18:19], v[60:61], v[22:23]
	v_add_f64 v[20:21], v[62:63], v[20:21]
	v_add_f64 v[22:23], v[22:23], -v[60:61]
	v_add_f64 v[24:25], v[38:39], -v[32:33]
	v_add_f64 v[26:27], v[30:31], v[44:45]
	v_add_f64 v[28:29], v[68:69], -v[58:59]
	v_add_f64 v[30:31], v[56:57], v[70:71]
	v_add_f64 v[32:33], v[52:53], v[82:83]
	v_add_f64 v[34:35], v[84:85], -v[80:81]
	v_add_f64 v[36:37], v[78:79], v[64:65]
	v_add_f64 v[38:39], v[66:67], -v[76:77]
	v_add_f64 v[40:41], v[46:47], -v[54:55]
	v_add_f64 v[42:43], v[48:49], v[50:51]
	v_add_f64 v[44:45], v[54:55], v[46:47]
	v_add_f64 v[46:47], v[50:51], -v[48:49]
	v_add_f64 v[48:49], v[64:65], -v[78:79]
	v_add_f64 v[50:51], v[76:77], v[66:67]
	v_add_f64 v[52:53], v[82:83], -v[52:53]
	v_add_f64 v[54:55], v[80:81], v[84:85]
	v_lshl_add_u32 v56, v174, 4, v175
	ds_store_b128 v73, v[0:3]
	ds_store_b128 v73, v[4:7] offset:1360
	ds_store_b128 v73, v[8:11] offset:2720
	;; [unrolled: 1-line block ×13, first 2 shown]
	s_waitcnt lgkmcnt(0)
	s_barrier
	buffer_gl0_inv
	ds_load_b128 v[4:7], v172
	v_mov_b32_e32 v73, 0
	v_sub_nc_u32_e32 v14, v176, v173
                                        ; implicit-def: $vgpr0_vgpr1
                                        ; implicit-def: $vgpr8_vgpr9
                                        ; implicit-def: $vgpr10_vgpr11
                                        ; implicit-def: $vgpr12_vgpr13
	v_cmpx_ne_u32_e32 0, v72
	s_xor_b32 s3, exec_lo, s3
	s_cbranch_execz .LBB0_18
; %bb.17:
	v_lshlrev_b64 v[0:1], 4, v[72:73]
                                        ; implicit-def: $vgpr176
	s_delay_alu instid0(VALU_DEP_1) | instskip(NEXT) | instid1(VALU_DEP_1)
	v_add_co_u32 v0, s0, s1, v0
	v_add_co_ci_u32_e64 v1, s0, s2, v1, s0
	global_load_b128 v[15:18], v[0:1], off
	ds_load_b128 v[0:3], v14 offset:19040
	s_waitcnt lgkmcnt(0)
	v_add_f64 v[8:9], v[4:5], -v[0:1]
	v_add_f64 v[10:11], v[6:7], v[2:3]
	v_add_f64 v[2:3], v[6:7], -v[2:3]
	v_add_f64 v[0:1], v[4:5], v[0:1]
	s_delay_alu instid0(VALU_DEP_4) | instskip(NEXT) | instid1(VALU_DEP_4)
	v_mul_f64 v[6:7], v[8:9], 0.5
	v_mul_f64 v[4:5], v[10:11], 0.5
	s_delay_alu instid0(VALU_DEP_4) | instskip(SKIP_1) | instid1(VALU_DEP_3)
	v_mul_f64 v[2:3], v[2:3], 0.5
	s_waitcnt vmcnt(0)
	v_mul_f64 v[8:9], v[6:7], v[17:18]
	s_delay_alu instid0(VALU_DEP_2) | instskip(SKIP_1) | instid1(VALU_DEP_3)
	v_fma_f64 v[10:11], v[4:5], v[17:18], v[2:3]
	v_fma_f64 v[2:3], v[4:5], v[17:18], -v[2:3]
	v_fma_f64 v[12:13], v[0:1], 0.5, v[8:9]
	v_fma_f64 v[0:1], v[0:1], 0.5, -v[8:9]
	s_delay_alu instid0(VALU_DEP_4) | instskip(NEXT) | instid1(VALU_DEP_4)
	v_fma_f64 v[10:11], -v[15:16], v[6:7], v[10:11]
	v_fma_f64 v[2:3], -v[15:16], v[6:7], v[2:3]
	s_delay_alu instid0(VALU_DEP_4) | instskip(NEXT) | instid1(VALU_DEP_4)
	v_fma_f64 v[8:9], v[4:5], v[15:16], v[12:13]
	v_fma_f64 v[0:1], -v[4:5], v[15:16], v[0:1]
	v_dual_mov_b32 v12, v72 :: v_dual_mov_b32 v13, v73
                                        ; implicit-def: $vgpr4_vgpr5
.LBB0_18:
	s_and_not1_saveexec_b32 s0, s3
	s_cbranch_execz .LBB0_20
; %bb.19:
	s_waitcnt lgkmcnt(0)
	v_add_f64 v[8:9], v[4:5], v[6:7]
	v_add_f64 v[0:1], v[4:5], -v[6:7]
	ds_load_b64 v[4:5], v176 offset:9528
	v_mov_b32_e32 v10, 0
	v_dual_mov_b32 v11, 0 :: v_dual_mov_b32 v12, 0
	s_delay_alu instid0(VALU_DEP_2) | instskip(NEXT) | instid1(VALU_DEP_2)
	v_dual_mov_b32 v13, 0 :: v_dual_mov_b32 v2, v10
	v_mov_b32_e32 v3, v11
	s_waitcnt lgkmcnt(0)
	v_xor_b32_e32 v5, 0x80000000, v5
	ds_store_b64 v176, v[4:5] offset:9528
.LBB0_20:
	s_or_b32 exec_lo, exec_lo, s0
	s_waitcnt lgkmcnt(0)
	v_lshlrev_b64 v[4:5], 4, v[12:13]
	v_add_nc_u32_e32 v25, 0x800, v172
	s_delay_alu instid0(VALU_DEP_2) | instskip(NEXT) | instid1(VALU_DEP_1)
	v_add_co_u32 v23, s0, s1, v4
	v_add_co_ci_u32_e64 v24, s0, s2, v5, s0
	s_clause 0x1
	global_load_b128 v[15:18], v[23:24], off offset:1360
	global_load_b128 v[19:22], v[23:24], off offset:2720
	ds_store_2addr_b64 v172, v[8:9], v[10:11] offset1:1
	ds_store_b128 v14, v[0:3] offset:19040
	ds_load_b128 v[0:3], v172 offset:1360
	ds_load_b128 v[6:9], v14 offset:17680
	s_waitcnt lgkmcnt(0)
	v_add_f64 v[10:11], v[0:1], -v[6:7]
	v_add_f64 v[12:13], v[2:3], v[8:9]
	v_add_f64 v[2:3], v[2:3], -v[8:9]
	v_add_f64 v[0:1], v[0:1], v[6:7]
	s_delay_alu instid0(VALU_DEP_4) | instskip(NEXT) | instid1(VALU_DEP_4)
	v_mul_f64 v[8:9], v[10:11], 0.5
	v_mul_f64 v[10:11], v[12:13], 0.5
	s_delay_alu instid0(VALU_DEP_4) | instskip(SKIP_1) | instid1(VALU_DEP_3)
	v_mul_f64 v[2:3], v[2:3], 0.5
	s_waitcnt vmcnt(1)
	v_mul_f64 v[6:7], v[8:9], v[17:18]
	s_delay_alu instid0(VALU_DEP_2) | instskip(SKIP_1) | instid1(VALU_DEP_3)
	v_fma_f64 v[12:13], v[10:11], v[17:18], v[2:3]
	v_fma_f64 v[2:3], v[10:11], v[17:18], -v[2:3]
	v_fma_f64 v[17:18], v[0:1], 0.5, v[6:7]
	v_fma_f64 v[0:1], v[0:1], 0.5, -v[6:7]
	s_delay_alu instid0(VALU_DEP_4) | instskip(NEXT) | instid1(VALU_DEP_4)
	v_fma_f64 v[12:13], -v[15:16], v[8:9], v[12:13]
	v_fma_f64 v[2:3], -v[15:16], v[8:9], v[2:3]
	global_load_b128 v[6:9], v[23:24], off offset:4080
	v_fma_f64 v[17:18], v[10:11], v[15:16], v[17:18]
	v_fma_f64 v[0:1], -v[10:11], v[15:16], v[0:1]
	ds_store_2addr_b64 v172, v[17:18], v[12:13] offset0:170 offset1:171
	ds_store_b128 v14, v[0:3] offset:17680
	ds_load_b128 v[0:3], v172 offset:2720
	ds_load_b128 v[10:13], v14 offset:16320
	s_waitcnt lgkmcnt(0)
	v_add_f64 v[15:16], v[0:1], -v[10:11]
	v_add_f64 v[17:18], v[2:3], v[12:13]
	v_add_f64 v[2:3], v[2:3], -v[12:13]
	v_add_f64 v[0:1], v[0:1], v[10:11]
	s_delay_alu instid0(VALU_DEP_4) | instskip(NEXT) | instid1(VALU_DEP_4)
	v_mul_f64 v[12:13], v[15:16], 0.5
	v_mul_f64 v[15:16], v[17:18], 0.5
	s_delay_alu instid0(VALU_DEP_4) | instskip(SKIP_1) | instid1(VALU_DEP_3)
	v_mul_f64 v[2:3], v[2:3], 0.5
	s_waitcnt vmcnt(1)
	v_mul_f64 v[10:11], v[12:13], v[21:22]
	s_delay_alu instid0(VALU_DEP_2) | instskip(SKIP_1) | instid1(VALU_DEP_3)
	v_fma_f64 v[17:18], v[15:16], v[21:22], v[2:3]
	v_fma_f64 v[2:3], v[15:16], v[21:22], -v[2:3]
	v_fma_f64 v[21:22], v[0:1], 0.5, v[10:11]
	v_fma_f64 v[0:1], v[0:1], 0.5, -v[10:11]
	s_delay_alu instid0(VALU_DEP_4) | instskip(NEXT) | instid1(VALU_DEP_4)
	v_fma_f64 v[17:18], -v[19:20], v[12:13], v[17:18]
	v_fma_f64 v[2:3], -v[19:20], v[12:13], v[2:3]
	s_delay_alu instid0(VALU_DEP_4) | instskip(NEXT) | instid1(VALU_DEP_4)
	v_fma_f64 v[21:22], v[15:16], v[19:20], v[21:22]
	v_fma_f64 v[0:1], -v[15:16], v[19:20], v[0:1]
	v_add_co_u32 v19, s0, 0x1000, v23
	s_delay_alu instid0(VALU_DEP_1)
	v_add_co_ci_u32_e64 v20, s0, 0, v24, s0
	global_load_b128 v[10:13], v[19:20], off offset:1344
	ds_store_2addr_b64 v25, v[21:22], v[17:18] offset0:84 offset1:85
	ds_store_b128 v14, v[0:3] offset:16320
	ds_load_b128 v[0:3], v172 offset:4080
	ds_load_b128 v[15:18], v14 offset:14960
	s_waitcnt lgkmcnt(0)
	v_add_f64 v[21:22], v[0:1], -v[15:16]
	v_add_f64 v[23:24], v[2:3], v[17:18]
	v_add_f64 v[2:3], v[2:3], -v[17:18]
	v_add_f64 v[0:1], v[0:1], v[15:16]
	s_delay_alu instid0(VALU_DEP_4) | instskip(NEXT) | instid1(VALU_DEP_4)
	v_mul_f64 v[17:18], v[21:22], 0.5
	v_mul_f64 v[21:22], v[23:24], 0.5
	s_delay_alu instid0(VALU_DEP_4) | instskip(SKIP_1) | instid1(VALU_DEP_3)
	v_mul_f64 v[2:3], v[2:3], 0.5
	s_waitcnt vmcnt(1)
	v_mul_f64 v[15:16], v[17:18], v[8:9]
	s_delay_alu instid0(VALU_DEP_2) | instskip(SKIP_1) | instid1(VALU_DEP_3)
	v_fma_f64 v[23:24], v[21:22], v[8:9], v[2:3]
	v_fma_f64 v[2:3], v[21:22], v[8:9], -v[2:3]
	v_fma_f64 v[8:9], v[0:1], 0.5, v[15:16]
	v_fma_f64 v[0:1], v[0:1], 0.5, -v[15:16]
	s_delay_alu instid0(VALU_DEP_4) | instskip(NEXT) | instid1(VALU_DEP_4)
	v_fma_f64 v[15:16], -v[6:7], v[17:18], v[23:24]
	v_fma_f64 v[2:3], -v[6:7], v[17:18], v[2:3]
	s_delay_alu instid0(VALU_DEP_4) | instskip(NEXT) | instid1(VALU_DEP_4)
	v_fma_f64 v[17:18], v[21:22], v[6:7], v[8:9]
	v_fma_f64 v[0:1], -v[21:22], v[6:7], v[0:1]
	global_load_b128 v[6:9], v[19:20], off offset:2704
	ds_store_2addr_b64 v25, v[17:18], v[15:16] offset0:254 offset1:255
	ds_store_b128 v14, v[0:3] offset:14960
	ds_load_b128 v[0:3], v172 offset:5440
	ds_load_b128 v[15:18], v14 offset:13600
	s_waitcnt lgkmcnt(0)
	v_add_f64 v[21:22], v[0:1], -v[15:16]
	v_add_f64 v[23:24], v[2:3], v[17:18]
	v_add_f64 v[2:3], v[2:3], -v[17:18]
	v_add_f64 v[0:1], v[0:1], v[15:16]
	s_delay_alu instid0(VALU_DEP_4) | instskip(NEXT) | instid1(VALU_DEP_4)
	v_mul_f64 v[17:18], v[21:22], 0.5
	v_mul_f64 v[21:22], v[23:24], 0.5
	s_delay_alu instid0(VALU_DEP_4) | instskip(SKIP_1) | instid1(VALU_DEP_3)
	v_mul_f64 v[2:3], v[2:3], 0.5
	s_waitcnt vmcnt(1)
	v_mul_f64 v[15:16], v[17:18], v[12:13]
	s_delay_alu instid0(VALU_DEP_2) | instskip(SKIP_1) | instid1(VALU_DEP_3)
	v_fma_f64 v[23:24], v[21:22], v[12:13], v[2:3]
	v_fma_f64 v[2:3], v[21:22], v[12:13], -v[2:3]
	v_fma_f64 v[12:13], v[0:1], 0.5, v[15:16]
	v_fma_f64 v[0:1], v[0:1], 0.5, -v[15:16]
	s_delay_alu instid0(VALU_DEP_4) | instskip(NEXT) | instid1(VALU_DEP_4)
	v_fma_f64 v[15:16], -v[10:11], v[17:18], v[23:24]
	v_fma_f64 v[2:3], -v[10:11], v[17:18], v[2:3]
	s_delay_alu instid0(VALU_DEP_4) | instskip(NEXT) | instid1(VALU_DEP_4)
	v_fma_f64 v[17:18], v[21:22], v[10:11], v[12:13]
	v_fma_f64 v[0:1], -v[21:22], v[10:11], v[0:1]
	global_load_b128 v[10:13], v[19:20], off offset:4064
	v_add_nc_u32_e32 v19, 0x1000, v172
	ds_store_2addr_b64 v19, v[17:18], v[15:16] offset0:168 offset1:169
	ds_store_b128 v14, v[0:3] offset:13600
	ds_load_b128 v[0:3], v172 offset:6800
	ds_load_b128 v[15:18], v14 offset:12240
	s_waitcnt lgkmcnt(0)
	v_add_f64 v[19:20], v[0:1], -v[15:16]
	v_add_f64 v[21:22], v[2:3], v[17:18]
	v_add_f64 v[2:3], v[2:3], -v[17:18]
	v_add_f64 v[0:1], v[0:1], v[15:16]
	s_delay_alu instid0(VALU_DEP_4) | instskip(NEXT) | instid1(VALU_DEP_4)
	v_mul_f64 v[17:18], v[19:20], 0.5
	v_mul_f64 v[19:20], v[21:22], 0.5
	s_delay_alu instid0(VALU_DEP_4) | instskip(SKIP_1) | instid1(VALU_DEP_3)
	v_mul_f64 v[2:3], v[2:3], 0.5
	s_waitcnt vmcnt(1)
	v_mul_f64 v[15:16], v[17:18], v[8:9]
	s_delay_alu instid0(VALU_DEP_2) | instskip(SKIP_1) | instid1(VALU_DEP_3)
	v_fma_f64 v[21:22], v[19:20], v[8:9], v[2:3]
	v_fma_f64 v[2:3], v[19:20], v[8:9], -v[2:3]
	v_fma_f64 v[8:9], v[0:1], 0.5, v[15:16]
	v_fma_f64 v[0:1], v[0:1], 0.5, -v[15:16]
	s_delay_alu instid0(VALU_DEP_4) | instskip(NEXT) | instid1(VALU_DEP_4)
	v_fma_f64 v[15:16], -v[6:7], v[17:18], v[21:22]
	v_fma_f64 v[2:3], -v[6:7], v[17:18], v[2:3]
	s_delay_alu instid0(VALU_DEP_4) | instskip(NEXT) | instid1(VALU_DEP_4)
	v_fma_f64 v[8:9], v[19:20], v[6:7], v[8:9]
	v_fma_f64 v[0:1], -v[19:20], v[6:7], v[0:1]
	v_add_nc_u32_e32 v19, 0x1800, v172
	ds_store_2addr_b64 v19, v[8:9], v[15:16] offset0:82 offset1:83
	ds_store_b128 v14, v[0:3] offset:12240
	ds_load_b128 v[0:3], v172 offset:8160
	ds_load_b128 v[6:9], v14 offset:10880
	s_waitcnt lgkmcnt(0)
	v_add_f64 v[15:16], v[0:1], -v[6:7]
	v_add_f64 v[17:18], v[2:3], v[8:9]
	v_add_f64 v[2:3], v[2:3], -v[8:9]
	v_add_f64 v[0:1], v[0:1], v[6:7]
	s_delay_alu instid0(VALU_DEP_4) | instskip(NEXT) | instid1(VALU_DEP_4)
	v_mul_f64 v[8:9], v[15:16], 0.5
	v_mul_f64 v[15:16], v[17:18], 0.5
	s_delay_alu instid0(VALU_DEP_4) | instskip(SKIP_1) | instid1(VALU_DEP_3)
	v_mul_f64 v[2:3], v[2:3], 0.5
	s_waitcnt vmcnt(0)
	v_mul_f64 v[6:7], v[8:9], v[12:13]
	s_delay_alu instid0(VALU_DEP_2) | instskip(SKIP_1) | instid1(VALU_DEP_3)
	v_fma_f64 v[17:18], v[15:16], v[12:13], v[2:3]
	v_fma_f64 v[2:3], v[15:16], v[12:13], -v[2:3]
	v_fma_f64 v[12:13], v[0:1], 0.5, v[6:7]
	v_fma_f64 v[0:1], v[0:1], 0.5, -v[6:7]
	s_delay_alu instid0(VALU_DEP_4) | instskip(NEXT) | instid1(VALU_DEP_4)
	v_fma_f64 v[6:7], -v[10:11], v[8:9], v[17:18]
	v_fma_f64 v[2:3], -v[10:11], v[8:9], v[2:3]
	s_delay_alu instid0(VALU_DEP_4) | instskip(NEXT) | instid1(VALU_DEP_4)
	v_fma_f64 v[8:9], v[15:16], v[10:11], v[12:13]
	v_fma_f64 v[0:1], -v[15:16], v[10:11], v[0:1]
	ds_store_2addr_b64 v19, v[8:9], v[6:7] offset0:252 offset1:253
	ds_store_b128 v14, v[0:3] offset:10880
	s_waitcnt lgkmcnt(0)
	s_barrier
	buffer_gl0_inv
	s_and_saveexec_b32 s0, vcc_lo
	s_cbranch_execz .LBB0_23
; %bb.21:
	ds_load_b128 v[6:9], v172
	ds_load_b128 v[10:13], v172 offset:1360
	v_add_co_u32 v0, vcc_lo, s8, v74
	v_add_co_ci_u32_e32 v1, vcc_lo, s9, v75, vcc_lo
	ds_load_b128 v[14:17], v172 offset:2720
	ds_load_b128 v[18:21], v172 offset:4080
	;; [unrolled: 1-line block ×4, first 2 shown]
	v_add_co_u32 v50, vcc_lo, v0, v4
	v_add_co_ci_u32_e32 v51, vcc_lo, v1, v5, vcc_lo
	ds_load_b128 v[2:5], v172 offset:8160
	ds_load_b128 v[30:33], v172 offset:9520
	;; [unrolled: 1-line block ×4, first 2 shown]
	v_add_co_u32 v52, vcc_lo, 0x1000, v50
	v_add_co_ci_u32_e32 v53, vcc_lo, 0, v51, vcc_lo
	v_add_co_u32 v54, vcc_lo, 0x2000, v50
	v_add_co_ci_u32_e32 v55, vcc_lo, 0, v51, vcc_lo
	s_waitcnt lgkmcnt(9)
	global_store_b128 v[50:51], v[6:9], off
	s_waitcnt lgkmcnt(8)
	global_store_b128 v[50:51], v[10:13], off offset:1360
	ds_load_b128 v[6:9], v172 offset:13600
	ds_load_b128 v[10:13], v172 offset:14960
	;; [unrolled: 1-line block ×4, first 2 shown]
	s_waitcnt lgkmcnt(11)
	global_store_b128 v[50:51], v[14:17], off offset:2720
	s_waitcnt lgkmcnt(10)
	global_store_b128 v[50:51], v[18:21], off offset:4080
	;; [unrolled: 2-line block ×8, first 2 shown]
	v_add_co_u32 v2, vcc_lo, 0x3000, v50
	v_add_co_ci_u32_e32 v3, vcc_lo, 0, v51, vcc_lo
	v_add_co_u32 v4, vcc_lo, 0x4000, v50
	v_add_co_ci_u32_e32 v5, vcc_lo, 0, v51, vcc_lo
	v_cmp_eq_u32_e32 vcc_lo, 0x54, v72
	s_waitcnt lgkmcnt(3)
	global_store_b128 v[2:3], v[6:9], off offset:1312
	s_waitcnt lgkmcnt(2)
	global_store_b128 v[2:3], v[10:13], off offset:2672
	;; [unrolled: 2-line block ×4, first 2 shown]
	s_and_b32 exec_lo, exec_lo, vcc_lo
	s_cbranch_execz .LBB0_23
; %bb.22:
	ds_load_b128 v[2:5], v172 offset:17696
	v_add_co_u32 v0, vcc_lo, 0x4000, v0
	v_add_co_ci_u32_e32 v1, vcc_lo, 0, v1, vcc_lo
	s_waitcnt lgkmcnt(0)
	global_store_b128 v[0:1], v[2:5], off offset:2656
.LBB0_23:
	s_nop 0
	s_sendmsg sendmsg(MSG_DEALLOC_VGPRS)
	s_endpgm
	.section	.rodata,"a",@progbits
	.p2align	6, 0x0
	.amdhsa_kernel fft_rtc_back_len1190_factors_17_2_5_7_wgs_255_tpt_85_halfLds_dp_ip_CI_unitstride_sbrr_R2C_dirReg
		.amdhsa_group_segment_fixed_size 0
		.amdhsa_private_segment_fixed_size 0
		.amdhsa_kernarg_size 88
		.amdhsa_user_sgpr_count 15
		.amdhsa_user_sgpr_dispatch_ptr 0
		.amdhsa_user_sgpr_queue_ptr 0
		.amdhsa_user_sgpr_kernarg_segment_ptr 1
		.amdhsa_user_sgpr_dispatch_id 0
		.amdhsa_user_sgpr_private_segment_size 0
		.amdhsa_wavefront_size32 1
		.amdhsa_uses_dynamic_stack 0
		.amdhsa_enable_private_segment 0
		.amdhsa_system_sgpr_workgroup_id_x 1
		.amdhsa_system_sgpr_workgroup_id_y 0
		.amdhsa_system_sgpr_workgroup_id_z 0
		.amdhsa_system_sgpr_workgroup_info 0
		.amdhsa_system_vgpr_workitem_id 0
		.amdhsa_next_free_vgpr 226
		.amdhsa_next_free_sgpr 48
		.amdhsa_reserve_vcc 1
		.amdhsa_float_round_mode_32 0
		.amdhsa_float_round_mode_16_64 0
		.amdhsa_float_denorm_mode_32 3
		.amdhsa_float_denorm_mode_16_64 3
		.amdhsa_dx10_clamp 1
		.amdhsa_ieee_mode 1
		.amdhsa_fp16_overflow 0
		.amdhsa_workgroup_processor_mode 1
		.amdhsa_memory_ordered 1
		.amdhsa_forward_progress 0
		.amdhsa_shared_vgpr_count 0
		.amdhsa_exception_fp_ieee_invalid_op 0
		.amdhsa_exception_fp_denorm_src 0
		.amdhsa_exception_fp_ieee_div_zero 0
		.amdhsa_exception_fp_ieee_overflow 0
		.amdhsa_exception_fp_ieee_underflow 0
		.amdhsa_exception_fp_ieee_inexact 0
		.amdhsa_exception_int_div_zero 0
	.end_amdhsa_kernel
	.text
.Lfunc_end0:
	.size	fft_rtc_back_len1190_factors_17_2_5_7_wgs_255_tpt_85_halfLds_dp_ip_CI_unitstride_sbrr_R2C_dirReg, .Lfunc_end0-fft_rtc_back_len1190_factors_17_2_5_7_wgs_255_tpt_85_halfLds_dp_ip_CI_unitstride_sbrr_R2C_dirReg
                                        ; -- End function
	.section	.AMDGPU.csdata,"",@progbits
; Kernel info:
; codeLenInByte = 17052
; NumSgprs: 50
; NumVgprs: 226
; ScratchSize: 0
; MemoryBound: 0
; FloatMode: 240
; IeeeMode: 1
; LDSByteSize: 0 bytes/workgroup (compile time only)
; SGPRBlocks: 6
; VGPRBlocks: 28
; NumSGPRsForWavesPerEU: 50
; NumVGPRsForWavesPerEU: 226
; Occupancy: 6
; WaveLimiterHint : 1
; COMPUTE_PGM_RSRC2:SCRATCH_EN: 0
; COMPUTE_PGM_RSRC2:USER_SGPR: 15
; COMPUTE_PGM_RSRC2:TRAP_HANDLER: 0
; COMPUTE_PGM_RSRC2:TGID_X_EN: 1
; COMPUTE_PGM_RSRC2:TGID_Y_EN: 0
; COMPUTE_PGM_RSRC2:TGID_Z_EN: 0
; COMPUTE_PGM_RSRC2:TIDIG_COMP_CNT: 0
	.text
	.p2alignl 7, 3214868480
	.fill 96, 4, 3214868480
	.type	__hip_cuid_f496014720d793fe,@object ; @__hip_cuid_f496014720d793fe
	.section	.bss,"aw",@nobits
	.globl	__hip_cuid_f496014720d793fe
__hip_cuid_f496014720d793fe:
	.byte	0                               ; 0x0
	.size	__hip_cuid_f496014720d793fe, 1

	.ident	"AMD clang version 19.0.0git (https://github.com/RadeonOpenCompute/llvm-project roc-6.4.0 25133 c7fe45cf4b819c5991fe208aaa96edf142730f1d)"
	.section	".note.GNU-stack","",@progbits
	.addrsig
	.addrsig_sym __hip_cuid_f496014720d793fe
	.amdgpu_metadata
---
amdhsa.kernels:
  - .args:
      - .actual_access:  read_only
        .address_space:  global
        .offset:         0
        .size:           8
        .value_kind:     global_buffer
      - .offset:         8
        .size:           8
        .value_kind:     by_value
      - .actual_access:  read_only
        .address_space:  global
        .offset:         16
        .size:           8
        .value_kind:     global_buffer
      - .actual_access:  read_only
        .address_space:  global
        .offset:         24
        .size:           8
        .value_kind:     global_buffer
      - .offset:         32
        .size:           8
        .value_kind:     by_value
      - .actual_access:  read_only
        .address_space:  global
        .offset:         40
        .size:           8
        .value_kind:     global_buffer
      - .actual_access:  read_only
        .address_space:  global
        .offset:         48
        .size:           8
        .value_kind:     global_buffer
      - .offset:         56
        .size:           4
        .value_kind:     by_value
      - .actual_access:  read_only
        .address_space:  global
        .offset:         64
        .size:           8
        .value_kind:     global_buffer
      - .actual_access:  read_only
        .address_space:  global
        .offset:         72
        .size:           8
        .value_kind:     global_buffer
      - .address_space:  global
        .offset:         80
        .size:           8
        .value_kind:     global_buffer
    .group_segment_fixed_size: 0
    .kernarg_segment_align: 8
    .kernarg_segment_size: 88
    .language:       OpenCL C
    .language_version:
      - 2
      - 0
    .max_flat_workgroup_size: 255
    .name:           fft_rtc_back_len1190_factors_17_2_5_7_wgs_255_tpt_85_halfLds_dp_ip_CI_unitstride_sbrr_R2C_dirReg
    .private_segment_fixed_size: 0
    .sgpr_count:     50
    .sgpr_spill_count: 0
    .symbol:         fft_rtc_back_len1190_factors_17_2_5_7_wgs_255_tpt_85_halfLds_dp_ip_CI_unitstride_sbrr_R2C_dirReg.kd
    .uniform_work_group_size: 1
    .uses_dynamic_stack: false
    .vgpr_count:     226
    .vgpr_spill_count: 0
    .wavefront_size: 32
    .workgroup_processor_mode: 1
amdhsa.target:   amdgcn-amd-amdhsa--gfx1100
amdhsa.version:
  - 1
  - 2
...

	.end_amdgpu_metadata
